;; amdgpu-corpus repo=ROCm/rocFFT kind=compiled arch=gfx1030 opt=O3
	.text
	.amdgcn_target "amdgcn-amd-amdhsa--gfx1030"
	.amdhsa_code_object_version 6
	.protected	fft_rtc_fwd_len4050_factors_10_5_3_3_3_3_wgs_135_tpt_135_halfLds_half_ip_CI_unitstride_sbrr_R2C_dirReg ; -- Begin function fft_rtc_fwd_len4050_factors_10_5_3_3_3_3_wgs_135_tpt_135_halfLds_half_ip_CI_unitstride_sbrr_R2C_dirReg
	.globl	fft_rtc_fwd_len4050_factors_10_5_3_3_3_3_wgs_135_tpt_135_halfLds_half_ip_CI_unitstride_sbrr_R2C_dirReg
	.p2align	8
	.type	fft_rtc_fwd_len4050_factors_10_5_3_3_3_3_wgs_135_tpt_135_halfLds_half_ip_CI_unitstride_sbrr_R2C_dirReg,@function
fft_rtc_fwd_len4050_factors_10_5_3_3_3_3_wgs_135_tpt_135_halfLds_half_ip_CI_unitstride_sbrr_R2C_dirReg: ; @fft_rtc_fwd_len4050_factors_10_5_3_3_3_3_wgs_135_tpt_135_halfLds_half_ip_CI_unitstride_sbrr_R2C_dirReg
; %bb.0:
	s_clause 0x2
	s_load_dwordx4 s[8:11], s[4:5], 0x0
	s_load_dwordx2 s[2:3], s[4:5], 0x50
	s_load_dwordx2 s[12:13], s[4:5], 0x18
	v_mul_u32_u24_e32 v1, 0x1e6, v0
	v_mov_b32_e32 v3, 0
	v_add_nc_u32_sdwa v5, s6, v1 dst_sel:DWORD dst_unused:UNUSED_PAD src0_sel:DWORD src1_sel:WORD_1
	v_mov_b32_e32 v1, 0
	v_mov_b32_e32 v6, v3
	v_mov_b32_e32 v2, 0
	s_waitcnt lgkmcnt(0)
	v_cmp_lt_u64_e64 s0, s[10:11], 2
	s_and_b32 vcc_lo, exec_lo, s0
	s_cbranch_vccnz .LBB0_8
; %bb.1:
	s_load_dwordx2 s[0:1], s[4:5], 0x10
	v_mov_b32_e32 v1, 0
	s_add_u32 s6, s12, 8
	v_mov_b32_e32 v2, 0
	s_addc_u32 s7, s13, 0
	s_mov_b64 s[16:17], 1
	s_waitcnt lgkmcnt(0)
	s_add_u32 s14, s0, 8
	s_addc_u32 s15, s1, 0
.LBB0_2:                                ; =>This Inner Loop Header: Depth=1
	s_load_dwordx2 s[18:19], s[14:15], 0x0
                                        ; implicit-def: $vgpr7_vgpr8
	s_mov_b32 s0, exec_lo
	s_waitcnt lgkmcnt(0)
	v_or_b32_e32 v4, s19, v6
	v_cmpx_ne_u64_e32 0, v[3:4]
	s_xor_b32 s1, exec_lo, s0
	s_cbranch_execz .LBB0_4
; %bb.3:                                ;   in Loop: Header=BB0_2 Depth=1
	v_cvt_f32_u32_e32 v4, s18
	v_cvt_f32_u32_e32 v7, s19
	s_sub_u32 s0, 0, s18
	s_subb_u32 s20, 0, s19
	v_fmac_f32_e32 v4, 0x4f800000, v7
	v_rcp_f32_e32 v4, v4
	v_mul_f32_e32 v4, 0x5f7ffffc, v4
	v_mul_f32_e32 v7, 0x2f800000, v4
	v_trunc_f32_e32 v7, v7
	v_fmac_f32_e32 v4, 0xcf800000, v7
	v_cvt_u32_f32_e32 v7, v7
	v_cvt_u32_f32_e32 v4, v4
	v_mul_lo_u32 v8, s0, v7
	v_mul_hi_u32 v9, s0, v4
	v_mul_lo_u32 v10, s20, v4
	v_add_nc_u32_e32 v8, v9, v8
	v_mul_lo_u32 v9, s0, v4
	v_add_nc_u32_e32 v8, v8, v10
	v_mul_hi_u32 v10, v4, v9
	v_mul_lo_u32 v11, v4, v8
	v_mul_hi_u32 v12, v4, v8
	v_mul_hi_u32 v13, v7, v9
	v_mul_lo_u32 v9, v7, v9
	v_mul_hi_u32 v14, v7, v8
	v_mul_lo_u32 v8, v7, v8
	v_add_co_u32 v10, vcc_lo, v10, v11
	v_add_co_ci_u32_e32 v11, vcc_lo, 0, v12, vcc_lo
	v_add_co_u32 v9, vcc_lo, v10, v9
	v_add_co_ci_u32_e32 v9, vcc_lo, v11, v13, vcc_lo
	v_add_co_ci_u32_e32 v10, vcc_lo, 0, v14, vcc_lo
	v_add_co_u32 v8, vcc_lo, v9, v8
	v_add_co_ci_u32_e32 v9, vcc_lo, 0, v10, vcc_lo
	v_add_co_u32 v4, vcc_lo, v4, v8
	v_add_co_ci_u32_e32 v7, vcc_lo, v7, v9, vcc_lo
	v_mul_hi_u32 v8, s0, v4
	v_mul_lo_u32 v10, s20, v4
	v_mul_lo_u32 v9, s0, v7
	v_add_nc_u32_e32 v8, v8, v9
	v_mul_lo_u32 v9, s0, v4
	v_add_nc_u32_e32 v8, v8, v10
	v_mul_hi_u32 v10, v4, v9
	v_mul_lo_u32 v11, v4, v8
	v_mul_hi_u32 v12, v4, v8
	v_mul_hi_u32 v13, v7, v9
	v_mul_lo_u32 v9, v7, v9
	v_mul_hi_u32 v14, v7, v8
	v_mul_lo_u32 v8, v7, v8
	v_add_co_u32 v10, vcc_lo, v10, v11
	v_add_co_ci_u32_e32 v11, vcc_lo, 0, v12, vcc_lo
	v_add_co_u32 v9, vcc_lo, v10, v9
	v_add_co_ci_u32_e32 v9, vcc_lo, v11, v13, vcc_lo
	v_add_co_ci_u32_e32 v10, vcc_lo, 0, v14, vcc_lo
	v_add_co_u32 v8, vcc_lo, v9, v8
	v_add_co_ci_u32_e32 v9, vcc_lo, 0, v10, vcc_lo
	v_add_co_u32 v4, vcc_lo, v4, v8
	v_add_co_ci_u32_e32 v11, vcc_lo, v7, v9, vcc_lo
	v_mul_hi_u32 v13, v5, v4
	v_mad_u64_u32 v[9:10], null, v6, v4, 0
	v_mad_u64_u32 v[7:8], null, v5, v11, 0
	;; [unrolled: 1-line block ×3, first 2 shown]
	v_add_co_u32 v4, vcc_lo, v13, v7
	v_add_co_ci_u32_e32 v7, vcc_lo, 0, v8, vcc_lo
	v_add_co_u32 v4, vcc_lo, v4, v9
	v_add_co_ci_u32_e32 v4, vcc_lo, v7, v10, vcc_lo
	v_add_co_ci_u32_e32 v7, vcc_lo, 0, v12, vcc_lo
	v_add_co_u32 v4, vcc_lo, v4, v11
	v_add_co_ci_u32_e32 v9, vcc_lo, 0, v7, vcc_lo
	v_mul_lo_u32 v10, s19, v4
	v_mad_u64_u32 v[7:8], null, s18, v4, 0
	v_mul_lo_u32 v11, s18, v9
	v_sub_co_u32 v7, vcc_lo, v5, v7
	v_add3_u32 v8, v8, v11, v10
	v_sub_nc_u32_e32 v10, v6, v8
	v_subrev_co_ci_u32_e64 v10, s0, s19, v10, vcc_lo
	v_add_co_u32 v11, s0, v4, 2
	v_add_co_ci_u32_e64 v12, s0, 0, v9, s0
	v_sub_co_u32 v13, s0, v7, s18
	v_sub_co_ci_u32_e32 v8, vcc_lo, v6, v8, vcc_lo
	v_subrev_co_ci_u32_e64 v10, s0, 0, v10, s0
	v_cmp_le_u32_e32 vcc_lo, s18, v13
	v_cmp_eq_u32_e64 s0, s19, v8
	v_cndmask_b32_e64 v13, 0, -1, vcc_lo
	v_cmp_le_u32_e32 vcc_lo, s19, v10
	v_cndmask_b32_e64 v14, 0, -1, vcc_lo
	v_cmp_le_u32_e32 vcc_lo, s18, v7
	;; [unrolled: 2-line block ×3, first 2 shown]
	v_cndmask_b32_e64 v15, 0, -1, vcc_lo
	v_cmp_eq_u32_e32 vcc_lo, s19, v10
	v_cndmask_b32_e64 v7, v15, v7, s0
	v_cndmask_b32_e32 v10, v14, v13, vcc_lo
	v_add_co_u32 v13, vcc_lo, v4, 1
	v_add_co_ci_u32_e32 v14, vcc_lo, 0, v9, vcc_lo
	v_cmp_ne_u32_e32 vcc_lo, 0, v10
	v_cndmask_b32_e32 v8, v14, v12, vcc_lo
	v_cndmask_b32_e32 v10, v13, v11, vcc_lo
	v_cmp_ne_u32_e32 vcc_lo, 0, v7
	v_cndmask_b32_e32 v8, v9, v8, vcc_lo
	v_cndmask_b32_e32 v7, v4, v10, vcc_lo
.LBB0_4:                                ;   in Loop: Header=BB0_2 Depth=1
	s_andn2_saveexec_b32 s0, s1
	s_cbranch_execz .LBB0_6
; %bb.5:                                ;   in Loop: Header=BB0_2 Depth=1
	v_cvt_f32_u32_e32 v4, s18
	s_sub_i32 s1, 0, s18
	v_rcp_iflag_f32_e32 v4, v4
	v_mul_f32_e32 v4, 0x4f7ffffe, v4
	v_cvt_u32_f32_e32 v4, v4
	v_mul_lo_u32 v7, s1, v4
	v_mul_hi_u32 v7, v4, v7
	v_add_nc_u32_e32 v4, v4, v7
	v_mul_hi_u32 v4, v5, v4
	v_mul_lo_u32 v7, v4, s18
	v_add_nc_u32_e32 v8, 1, v4
	v_sub_nc_u32_e32 v7, v5, v7
	v_subrev_nc_u32_e32 v9, s18, v7
	v_cmp_le_u32_e32 vcc_lo, s18, v7
	v_cndmask_b32_e32 v7, v7, v9, vcc_lo
	v_cndmask_b32_e32 v4, v4, v8, vcc_lo
	v_cmp_le_u32_e32 vcc_lo, s18, v7
	v_add_nc_u32_e32 v8, 1, v4
	v_cndmask_b32_e32 v7, v4, v8, vcc_lo
	v_mov_b32_e32 v8, v3
.LBB0_6:                                ;   in Loop: Header=BB0_2 Depth=1
	s_or_b32 exec_lo, exec_lo, s0
	s_load_dwordx2 s[0:1], s[6:7], 0x0
	v_mul_lo_u32 v4, v8, s18
	v_mul_lo_u32 v11, v7, s19
	v_mad_u64_u32 v[9:10], null, v7, s18, 0
	s_add_u32 s16, s16, 1
	s_addc_u32 s17, s17, 0
	s_add_u32 s6, s6, 8
	s_addc_u32 s7, s7, 0
	;; [unrolled: 2-line block ×3, first 2 shown]
	v_add3_u32 v4, v10, v11, v4
	v_sub_co_u32 v5, vcc_lo, v5, v9
	v_sub_co_ci_u32_e32 v4, vcc_lo, v6, v4, vcc_lo
	s_waitcnt lgkmcnt(0)
	v_mul_lo_u32 v6, s1, v5
	v_mul_lo_u32 v4, s0, v4
	v_mad_u64_u32 v[1:2], null, s0, v5, v[1:2]
	v_cmp_ge_u64_e64 s0, s[16:17], s[10:11]
	s_and_b32 vcc_lo, exec_lo, s0
	v_add3_u32 v2, v6, v2, v4
	s_cbranch_vccnz .LBB0_9
; %bb.7:                                ;   in Loop: Header=BB0_2 Depth=1
	v_mov_b32_e32 v5, v7
	v_mov_b32_e32 v6, v8
	s_branch .LBB0_2
.LBB0_8:
	v_mov_b32_e32 v8, v6
	v_mov_b32_e32 v7, v5
.LBB0_9:
	s_lshl_b64 s[0:1], s[10:11], 3
	v_mul_hi_u32 v3, 0x1e573ad, v0
	s_add_u32 s0, s12, s0
	s_addc_u32 s1, s13, s1
	s_load_dwordx2 s[4:5], s[4:5], 0x20
	s_load_dwordx2 s[0:1], s[0:1], 0x0
	v_mul_u32_u24_e32 v3, 0x87, v3
	v_sub_nc_u32_e32 v12, v0, v3
	v_add_nc_u32_e32 v14, 0x87, v12
	v_add_nc_u32_e32 v25, 0x10e, v12
	;; [unrolled: 1-line block ×5, first 2 shown]
	s_waitcnt lgkmcnt(0)
	v_cmp_gt_u64_e32 vcc_lo, s[4:5], v[7:8]
	v_mul_lo_u32 v3, s0, v8
	v_mul_lo_u32 v4, s1, v7
	v_mad_u64_u32 v[0:1], null, s0, v7, v[1:2]
	v_cmp_le_u64_e64 s0, s[4:5], v[7:8]
	v_add_nc_u32_e32 v22, 0x2a3, v12
	v_add_nc_u32_e32 v20, 0x3b1, v12
	;; [unrolled: 1-line block ×4, first 2 shown]
	v_add3_u32 v1, v4, v1, v3
	s_and_saveexec_b32 s1, s0
	s_xor_b32 s0, exec_lo, s1
; %bb.10:
	v_add_nc_u32_e32 v14, 0x87, v12
	v_add_nc_u32_e32 v25, 0x10e, v12
	;; [unrolled: 1-line block ×9, first 2 shown]
; %bb.11:
	s_or_saveexec_b32 s1, s0
	v_lshlrev_b64 v[16:17], 2, v[0:1]
	s_xor_b32 exec_lo, exec_lo, s1
	s_cbranch_execz .LBB0_13
; %bb.12:
	v_mov_b32_e32 v13, 0
	v_add_co_u32 v2, s0, s2, v16
	v_add_co_ci_u32_e64 v3, s0, s3, v17, s0
	v_lshlrev_b64 v[0:1], 2, v[12:13]
	v_add_co_u32 v0, s0, v2, v0
	v_add_co_ci_u32_e64 v1, s0, v3, v1, s0
	v_add_co_u32 v2, s0, 0x800, v0
	v_add_co_ci_u32_e64 v3, s0, 0, v1, s0
	s_clause 0x7
	global_load_dword v8, v[0:1], off
	global_load_dword v9, v[0:1], off offset:540
	global_load_dword v10, v[0:1], off offset:1080
	;; [unrolled: 1-line block ×7, first 2 shown]
	v_add_co_u32 v2, s0, 0x1000, v0
	v_add_co_ci_u32_e64 v3, s0, 0, v1, s0
	v_add_co_u32 v4, s0, 0x1800, v0
	v_add_co_ci_u32_e64 v5, s0, 0, v1, s0
	s_clause 0x7
	global_load_dword v28, v[2:3], off offset:224
	global_load_dword v29, v[2:3], off offset:764
	;; [unrolled: 1-line block ×8, first 2 shown]
	v_add_co_u32 v2, s0, 0x2000, v0
	v_add_co_ci_u32_e64 v3, s0, 0, v1, s0
	v_add_co_u32 v4, s0, 0x2800, v0
	v_add_co_ci_u32_e64 v5, s0, 0, v1, s0
	;; [unrolled: 2-line block ×4, first 2 shown]
	s_clause 0xd
	global_load_dword v36, v[2:3], off offset:448
	global_load_dword v37, v[2:3], off offset:988
	;; [unrolled: 1-line block ×14, first 2 shown]
	v_lshl_add_u32 v1, v12, 2, 0
	v_add_nc_u32_e32 v43, 0x400, v1
	v_add_nc_u32_e32 v44, 0x800, v1
	;; [unrolled: 1-line block ×14, first 2 shown]
	s_waitcnt vmcnt(28)
	ds_write2_b32 v1, v8, v9 offset1:135
	s_waitcnt vmcnt(26)
	ds_write2_b32 v43, v10, v11 offset0:14 offset1:149
	s_waitcnt vmcnt(24)
	ds_write2_b32 v44, v13, v15 offset0:28 offset1:163
	;; [unrolled: 2-line block ×14, first 2 shown]
.LBB0_13:
	s_or_b32 exec_lo, exec_lo, s1
	v_lshlrev_b32_e32 v13, 2, v12
	s_waitcnt lgkmcnt(0)
	s_barrier
	buffer_gl0_inv
	v_cmp_gt_u32_e64 s0, 15, v12
	v_add_nc_u32_e32 v34, 0, v13
	s_add_u32 s1, s8, 0x3f20
	s_addc_u32 s4, s9, 0
	s_mov_b32 s5, exec_lo
	v_add_nc_u32_e32 v0, 0x1000, v34
	v_add_nc_u32_e32 v35, 0x1c00, v34
	;; [unrolled: 1-line block ×9, first 2 shown]
	ds_read2_b32 v[4:5], v0 offset0:56 offset1:191
	ds_read2_b32 v[6:7], v35 offset0:98 offset1:233
	;; [unrolled: 1-line block ×4, first 2 shown]
	ds_read2_b32 v[9:10], v34 offset1:135
	ds_read2_b32 v[26:27], v37 offset0:40 offset1:175
	ds_read2_b32 v[28:29], v40 offset0:84 offset1:219
	;; [unrolled: 1-line block ×5, first 2 shown]
	s_waitcnt lgkmcnt(8)
	v_sub_f16_e32 v45, v5, v7
	v_sub_f16_sdwa v47, v5, v7 dst_sel:DWORD dst_unused:UNUSED_PAD src0_sel:WORD_1 src1_sel:WORD_1
	s_waitcnt lgkmcnt(5)
	v_lshrrev_b32_e32 v8, 16, v9
	s_waitcnt lgkmcnt(4)
	v_sub_f16_e32 v11, v26, v0
	s_waitcnt lgkmcnt(3)
	v_add_f16_sdwa v51, v28, v0 dst_sel:DWORD dst_unused:UNUSED_PAD src0_sel:WORD_1 src1_sel:WORD_1
	s_waitcnt lgkmcnt(2)
	v_add_f16_e32 v41, v7, v31
	s_waitcnt lgkmcnt(1)
	v_sub_f16_sdwa v57, v5, v33 dst_sel:DWORD dst_unused:UNUSED_PAD src0_sel:WORD_1 src1_sel:WORD_1
	v_add_f16_sdwa v46, v7, v31 dst_sel:DWORD dst_unused:UNUSED_PAD src0_sel:WORD_1 src1_sel:WORD_1
	s_waitcnt lgkmcnt(0)
	v_lshrrev_b32_e32 v59, 16, v44
	v_sub_f16_sdwa v58, v7, v31 dst_sel:DWORD dst_unused:UNUSED_PAD src0_sel:WORD_1 src1_sel:WORD_1
	v_fma_f16 v62, -0.5, v41, v44
	v_sub_f16_e32 v42, v33, v31
	v_sub_f16_e32 v60, v5, v33
	v_fma_f16 v64, -0.5, v46, v59
	v_sub_f16_e32 v61, v7, v31
	v_fmamk_f16 v46, v57, 0x3b9c, v62
	v_sub_f16_sdwa v48, v33, v31 dst_sel:DWORD dst_unused:UNUSED_PAD src0_sel:WORD_1 src1_sel:WORD_1
	v_add_f16_e32 v67, v45, v42
	v_fmamk_f16 v42, v60, 0xbb9c, v64
	v_add_f16_e32 v41, v28, v0
	v_fmac_f16_e32 v46, 0x38b4, v58
	v_add_f16_e32 v69, v47, v48
	v_sub_f16_e32 v39, v2, v28
	v_fmac_f16_e32 v42, 0xb8b4, v61
	v_sub_f16_sdwa v63, v2, v26 dst_sel:DWORD dst_unused:UNUSED_PAD src0_sel:WORD_1 src1_sel:WORD_1
	v_fmac_f16_e32 v46, 0x34f2, v67
	v_sub_f16_e32 v66, v2, v26
	v_fma_f16 v70, -0.5, v41, v9
	v_fma_f16 v71, -0.5, v51, v8
	v_fmac_f16_e32 v42, 0x34f2, v69
	v_mul_f16_e32 v72, 0x3a79, v46
	v_mul_f16_e32 v74, 0xb8b4, v46
	v_sub_f16_sdwa v49, v2, v28 dst_sel:DWORD dst_unused:UNUSED_PAD src0_sel:WORD_1 src1_sel:WORD_1
	v_sub_f16_sdwa v50, v26, v0 dst_sel:DWORD dst_unused:UNUSED_PAD src0_sel:WORD_1 src1_sel:WORD_1
	;; [unrolled: 1-line block ×3, first 2 shown]
	v_sub_f16_e32 v68, v28, v0
	v_add_f16_e32 v11, v39, v11
	v_fmamk_f16 v39, v63, 0x3b9c, v70
	v_fmamk_f16 v73, v66, 0xbb9c, v71
	v_fmac_f16_e32 v72, 0x38b4, v42
	v_fmac_f16_e32 v74, 0x3a79, v42
	v_pk_add_f16 v41, v9, v2
	v_pk_add_f16 v42, v44, v5
	v_add_f16_e32 v75, v49, v50
	v_fmac_f16_e32 v39, 0x38b4, v65
	v_fmac_f16_e32 v73, 0xb8b4, v68
	v_pk_add_f16 v41, v41, v28
	v_pk_add_f16 v42, v42, v7
	v_mul_u32_u24_e32 v47, 10, v12
	v_fmac_f16_e32 v39, 0x34f2, v11
	v_fmac_f16_e32 v73, 0x34f2, v75
	v_pk_add_f16 v41, v41, v0
	v_pk_add_f16 v42, v42, v31
	v_add_f16_e32 v80, v2, v26
	v_add_f16_e32 v45, v39, v72
	;; [unrolled: 1-line block ×3, first 2 shown]
	v_pk_add_f16 v78, v41, v26
	v_pk_add_f16 v79, v42, v33
	v_lshl_add_u32 v77, v47, 2, 0
	v_add_nc_u32_e32 v47, 0x800, v34
	v_pack_b32_f16 v76, v45, v46
	v_add_nc_u32_e32 v45, 0x2e00, v34
	v_fma_f16 v9, -0.5, v80, v9
	v_pk_add_f16 v80, v78, v79
	v_add_nc_u32_e32 v46, 0x1400, v34
	v_add_nc_u32_e32 v41, 0x3a00, v34
	;; [unrolled: 1-line block ×3, first 2 shown]
	ds_read2_b32 v[47:48], v47 offset0:28 offset1:163
	ds_read2_b32 v[49:50], v46 offset0:70 offset1:205
	;; [unrolled: 1-line block ×5, first 2 shown]
	s_waitcnt lgkmcnt(0)
	s_barrier
	v_sub_f16_e32 v81, v0, v26
	v_sub_f16_e32 v82, v28, v2
	buffer_gl0_inv
	v_fmamk_f16 v83, v65, 0xbb9c, v9
	v_fmac_f16_e32 v9, 0x3b9c, v65
	ds_write2_b32 v77, v80, v76 offset1:1
	v_add_f16_sdwa v80, v2, v26 dst_sel:DWORD dst_unused:UNUSED_PAD src0_sel:WORD_1 src1_sel:WORD_1
	v_sub_f16_sdwa v0, v0, v26 dst_sel:DWORD dst_unused:UNUSED_PAD src0_sel:WORD_1 src1_sel:WORD_1
	v_add_f16_e32 v26, v5, v33
	v_add_f16_e32 v76, v82, v81
	v_fmac_f16_e32 v83, 0x38b4, v63
	v_fmac_f16_e32 v9, 0xb8b4, v63
	v_sub_f16_sdwa v2, v28, v2 dst_sel:DWORD dst_unused:UNUSED_PAD src0_sel:WORD_1 src1_sel:WORD_1
	v_add_f16_sdwa v28, v5, v33 dst_sel:DWORD dst_unused:UNUSED_PAD src0_sel:WORD_1 src1_sel:WORD_1
	v_fma_f16 v26, -0.5, v26, v44
	v_fmac_f16_e32 v83, 0x34f2, v76
	v_fmac_f16_e32 v9, 0x34f2, v76
	v_sub_f16_e32 v44, v31, v33
	v_sub_f16_e32 v76, v7, v5
	v_fmac_f16_e32 v59, -0.5, v28
	v_fmamk_f16 v28, v58, 0xbb9c, v26
	v_fmac_f16_e32 v26, 0x3b9c, v58
	v_fmac_f16_e32 v8, -0.5, v80
	v_sub_f16_sdwa v5, v7, v5 dst_sel:DWORD dst_unused:UNUSED_PAD src0_sel:WORD_1 src1_sel:WORD_1
	v_sub_f16_sdwa v7, v31, v33 dst_sel:DWORD dst_unused:UNUSED_PAD src0_sel:WORD_1 src1_sel:WORD_1
	v_fmamk_f16 v31, v61, 0x3b9c, v59
	v_fmac_f16_e32 v59, 0xbb9c, v61
	v_add_f16_e32 v33, v76, v44
	v_fmac_f16_e32 v26, 0xb8b4, v57
	v_add_f16_e32 v0, v2, v0
	v_fmamk_f16 v2, v68, 0x3b9c, v8
	v_fmac_f16_e32 v8, 0xbb9c, v68
	v_add_f16_e32 v5, v5, v7
	v_fmac_f16_e32 v59, 0x38b4, v60
	v_fmac_f16_e32 v26, 0x34f2, v33
	;; [unrolled: 1-line block ×9, first 2 shown]
	v_mul_f16_e32 v7, 0x34f2, v26
	v_fmac_f16_e32 v31, 0x34f2, v5
	v_fmac_f16_e32 v28, 0x34f2, v33
	;; [unrolled: 1-line block ×5, first 2 shown]
	v_mul_f16_e32 v5, 0x34f2, v59
	v_fmac_f16_e32 v8, 0x34f2, v0
	v_fma_f16 v0, v59, 0x3b9c, -v7
	v_mul_f16_e32 v7, 0x3b9c, v31
	v_mul_f16_e32 v33, 0xbb9c, v28
	v_fmac_f16_e32 v70, 0xbb9c, v63
	v_fmac_f16_e32 v71, 0x3b9c, v66
	;; [unrolled: 1-line block ×4, first 2 shown]
	v_fma_f16 v5, v26, 0xbb9c, -v5
	v_fmac_f16_e32 v7, 0x34f2, v28
	v_fmac_f16_e32 v33, 0x34f2, v31
	;; [unrolled: 1-line block ×4, first 2 shown]
	v_mul_f16_e32 v44, 0x3a79, v62
	v_mul_f16_e32 v57, 0x3a79, v64
	v_add_f16_e32 v26, v9, v0
	v_add_f16_e32 v28, v8, v5
	;; [unrolled: 1-line block ×4, first 2 shown]
	v_fmac_f16_e32 v70, 0x34f2, v11
	v_fmac_f16_e32 v71, 0x34f2, v75
	v_fma_f16 v11, v64, 0x38b4, -v44
	v_fma_f16 v44, v62, 0xb8b4, -v57
	v_sub_f16_e32 v0, v9, v0
	v_sub_f16_e32 v5, v8, v5
	v_pack_b32_f16 v26, v26, v28
	v_pack_b32_f16 v28, v31, v58
	v_add_f16_e32 v57, v70, v11
	v_add_f16_e32 v58, v71, v44
	v_sub_f16_e32 v39, v39, v72
	v_sub_f16_e32 v7, v83, v7
	;; [unrolled: 1-line block ×6, first 2 shown]
	v_pack_b32_f16 v0, v0, v5
	v_pk_add_f16 v5, v43, v4
	v_pk_add_f16 v31, v78, v79 neg_lo:[0,1] neg_hi:[0,1]
	v_pack_b32_f16 v8, v57, v58
	v_pack_b32_f16 v33, v39, v59
	;; [unrolled: 1-line block ×4, first 2 shown]
	ds_write2_b32 v77, v28, v26 offset0:2 offset1:3
	ds_write2_b32 v77, v8, v31 offset0:4 offset1:5
	;; [unrolled: 1-line block ×4, first 2 shown]
	v_pk_add_f16 v0, v5, v6
	v_pk_add_f16 v39, v10, v3
	v_add_f16_e32 v2, v6, v30
	v_sub_f16_sdwa v5, v6, v30 dst_sel:DWORD dst_unused:UNUSED_PAD src0_sel:WORD_1 src1_sel:WORD_1
	v_sub_f16_e32 v7, v4, v6
	v_pk_add_f16 v0, v0, v30
	v_sub_f16_e32 v8, v6, v4
	v_add_f16_sdwa v9, v6, v30 dst_sel:DWORD dst_unused:UNUSED_PAD src0_sel:WORD_1 src1_sel:WORD_1
	v_sub_f16_e32 v11, v6, v30
	v_sub_f16_sdwa v26, v4, v6 dst_sel:DWORD dst_unused:UNUSED_PAD src0_sel:WORD_1 src1_sel:WORD_1
	v_sub_f16_sdwa v6, v6, v4 dst_sel:DWORD dst_unused:UNUSED_PAD src0_sel:WORD_1 src1_sel:WORD_1
	;; [unrolled: 1-line block ×3, first 2 shown]
	v_add_f16_e32 v31, v4, v32
	v_sub_f16_e32 v33, v4, v32
	v_add_f16_sdwa v4, v4, v32 dst_sel:DWORD dst_unused:UNUSED_PAD src0_sel:WORD_1 src1_sel:WORD_1
	v_sub_f16_e32 v44, v32, v30
	v_sub_f16_e32 v57, v30, v32
	v_sub_f16_sdwa v58, v32, v30 dst_sel:DWORD dst_unused:UNUSED_PAD src0_sel:WORD_1 src1_sel:WORD_1
	v_sub_f16_sdwa v30, v30, v32 dst_sel:DWORD dst_unused:UNUSED_PAD src0_sel:WORD_1 src1_sel:WORD_1
	v_pk_add_f16 v0, v0, v32
	v_pk_add_f16 v32, v39, v29
	v_add_f16_e32 v39, v29, v1
	v_sub_f16_e32 v60, v3, v29
	v_add_f16_e32 v66, v3, v27
	v_sub_f16_e32 v68, v27, v1
	v_pk_add_f16 v32, v32, v1
	v_pk_add_f16 v70, v48, v50
	;; [unrolled: 1-line block ×3, first 2 shown]
	v_sub_f16_sdwa v59, v29, v1 dst_sel:DWORD dst_unused:UNUSED_PAD src0_sel:WORD_1 src1_sel:WORD_1
	v_sub_f16_e32 v61, v29, v3
	v_add_f16_sdwa v62, v29, v1 dst_sel:DWORD dst_unused:UNUSED_PAD src0_sel:WORD_1 src1_sel:WORD_1
	v_sub_f16_e32 v63, v29, v1
	v_sub_f16_sdwa v64, v3, v29 dst_sel:DWORD dst_unused:UNUSED_PAD src0_sel:WORD_1 src1_sel:WORD_1
	v_sub_f16_sdwa v29, v29, v3 dst_sel:DWORD dst_unused:UNUSED_PAD src0_sel:WORD_1 src1_sel:WORD_1
	;; [unrolled: 1-line block ×3, first 2 shown]
	v_sub_f16_e32 v67, v3, v27
	v_add_f16_sdwa v3, v3, v27 dst_sel:DWORD dst_unused:UNUSED_PAD src0_sel:WORD_1 src1_sel:WORD_1
	v_sub_f16_e32 v69, v1, v27
	v_sub_f16_sdwa v72, v27, v1 dst_sel:DWORD dst_unused:UNUSED_PAD src0_sel:WORD_1 src1_sel:WORD_1
	v_sub_f16_sdwa v1, v1, v27 dst_sel:DWORD dst_unused:UNUSED_PAD src0_sel:WORD_1 src1_sel:WORD_1
	v_pk_add_f16 v27, v32, v27
	v_pk_add_f16 v32, v70, v52
	;; [unrolled: 1-line block ×3, first 2 shown]
	v_add_f16_e32 v79, v51, v53
	v_sub_f16_sdwa v80, v51, v53 dst_sel:DWORD dst_unused:UNUSED_PAD src0_sel:WORD_1 src1_sel:WORD_1
	v_sub_f16_e32 v81, v49, v51
	v_sub_f16_e32 v82, v51, v49
	v_add_f16_sdwa v83, v51, v53 dst_sel:DWORD dst_unused:UNUSED_PAD src0_sel:WORD_1 src1_sel:WORD_1
	v_sub_f16_e32 v84, v51, v53
	v_sub_f16_sdwa v85, v49, v51 dst_sel:DWORD dst_unused:UNUSED_PAD src0_sel:WORD_1 src1_sel:WORD_1
	v_sub_f16_sdwa v51, v51, v49 dst_sel:DWORD dst_unused:UNUSED_PAD src0_sel:WORD_1 src1_sel:WORD_1
	;; [unrolled: 1-line block ×3, first 2 shown]
	v_add_f16_e32 v90, v49, v55
	v_sub_f16_e32 v91, v49, v55
	v_add_f16_sdwa v49, v49, v55 dst_sel:DWORD dst_unused:UNUSED_PAD src0_sel:WORD_1 src1_sel:WORD_1
	v_lshrrev_b32_e32 v95, 16, v47
	v_add_f16_e32 v60, v60, v68
	v_lshrrev_b32_e32 v68, 16, v10
	v_fma_f16 v100, -0.5, v39, v10
	v_fma_f16 v10, -0.5, v66, v10
	v_pk_add_f16 v70, v70, v53
	v_sub_f16_e32 v96, v55, v53
	v_sub_f16_e32 v97, v53, v55
	v_sub_f16_sdwa v98, v55, v53 dst_sel:DWORD dst_unused:UNUSED_PAD src0_sel:WORD_1 src1_sel:WORD_1
	v_fma_f16 v83, -0.5, v83, v95
	v_fma_f16 v62, -0.5, v62, v68
	v_sub_f16_sdwa v39, v53, v55 dst_sel:DWORD dst_unused:UNUSED_PAD src0_sel:WORD_1 src1_sel:WORD_1
	v_fmamk_f16 v53, v59, 0xbb9c, v10
	v_fmac_f16_e32 v10, 0x3b9c, v59
	v_fmac_f16_e32 v68, -0.5, v3
	v_fma_f16 v3, -0.5, v90, v47
	v_fmac_f16_e32 v95, -0.5, v49
	v_fma_f16 v79, -0.5, v79, v47
	v_add_f16_e32 v61, v61, v69
	v_fmac_f16_e32 v53, 0x38b4, v65
	v_fmac_f16_e32 v10, 0xb8b4, v65
	v_fmamk_f16 v47, v80, 0xbb9c, v3
	v_fmac_f16_e32 v3, 0x3b9c, v80
	v_fmamk_f16 v49, v84, 0x3b9c, v95
	v_fmac_f16_e32 v95, 0xbb9c, v84
	v_fmac_f16_e32 v53, 0x34f2, v61
	;; [unrolled: 1-line block ×3, first 2 shown]
	v_add_f16_e32 v61, v82, v97
	v_fmac_f16_e32 v3, 0xb8b4, v89
	v_add_f16_e32 v39, v51, v39
	v_fmac_f16_e32 v95, 0x38b4, v91
	v_fmac_f16_e32 v49, 0xb8b4, v91
	;; [unrolled: 1-line block ×3, first 2 shown]
	v_add_f16_e32 v1, v29, v1
	v_fmamk_f16 v29, v63, 0x3b9c, v68
	v_fmac_f16_e32 v68, 0xbb9c, v63
	v_fmac_f16_e32 v3, 0x34f2, v61
	;; [unrolled: 1-line block ×7, first 2 shown]
	v_mul_f16_e32 v39, 0x34f2, v3
	v_mul_f16_e32 v51, 0x34f2, v95
	v_mul_f16_e32 v61, 0x3b9c, v49
	v_mul_f16_e32 v69, 0xbb9c, v47
	v_fmac_f16_e32 v29, 0x34f2, v1
	v_fmac_f16_e32 v68, 0x34f2, v1
	v_fma_f16 v1, v95, 0x3b9c, -v39
	v_fma_f16 v3, v3, 0xbb9c, -v51
	v_fmac_f16_e32 v61, 0x34f2, v47
	v_fmac_f16_e32 v69, 0x34f2, v49
	v_pk_add_f16 v55, v70, v55
	v_add_f16_e32 v47, v10, v1
	v_add_f16_e32 v49, v68, v3
	;; [unrolled: 1-line block ×4, first 2 shown]
	v_fma_f16 v2, -0.5, v2, v43
	v_fma_f16 v31, -0.5, v31, v43
	v_pack_b32_f16 v47, v47, v49
	v_lshrrev_b32_e32 v43, 16, v43
	v_pack_b32_f16 v49, v51, v70
	v_fmamk_f16 v51, v28, 0x3b9c, v2
	v_fmac_f16_e32 v2, 0xbb9c, v28
	v_add_f16_e32 v7, v7, v44
	v_fmamk_f16 v44, v5, 0xbb9c, v31
	v_fmac_f16_e32 v31, 0x3b9c, v5
	v_fmac_f16_e32 v51, 0x38b4, v5
	;; [unrolled: 1-line block ×3, first 2 shown]
	v_fma_f16 v5, -0.5, v9, v43
	v_add_f16_e32 v71, v52, v54
	v_fmac_f16_e32 v43, -0.5, v4
	v_sub_f16_sdwa v86, v50, v56 dst_sel:DWORD dst_unused:UNUSED_PAD src0_sel:WORD_1 src1_sel:WORD_1
	v_fmac_f16_e32 v51, 0x34f2, v7
	v_fmamk_f16 v4, v33, 0xbb9c, v5
	v_fmac_f16_e32 v5, 0x3b9c, v33
	v_fmac_f16_e32 v2, 0x34f2, v7
	v_add_f16_e32 v7, v8, v57
	v_fmac_f16_e32 v44, 0x38b4, v28
	v_fmac_f16_e32 v31, 0xb8b4, v28
	v_fmamk_f16 v9, v11, 0x3b9c, v43
	v_fmac_f16_e32 v43, 0xbb9c, v11
	v_fmac_f16_e32 v4, 0xb8b4, v11
	;; [unrolled: 1-line block ×3, first 2 shown]
	v_fma_f16 v11, -0.5, v71, v48
	v_sub_f16_sdwa v73, v52, v54 dst_sel:DWORD dst_unused:UNUSED_PAD src0_sel:WORD_1 src1_sel:WORD_1
	v_sub_f16_e32 v74, v50, v52
	v_sub_f16_e32 v92, v56, v54
	v_add_f16_e32 v8, v26, v58
	v_fmac_f16_e32 v44, 0x34f2, v7
	v_fmac_f16_e32 v31, 0x34f2, v7
	v_fmamk_f16 v7, v86, 0x3b9c, v11
	v_fmac_f16_e32 v11, 0xbb9c, v86
	v_sub_f16_e32 v75, v52, v50
	v_add_f16_sdwa v76, v52, v54 dst_sel:DWORD dst_unused:UNUSED_PAD src0_sel:WORD_1 src1_sel:WORD_1
	v_sub_f16_e32 v77, v52, v54
	v_sub_f16_sdwa v78, v50, v52 dst_sel:DWORD dst_unused:UNUSED_PAD src0_sel:WORD_1 src1_sel:WORD_1
	v_sub_f16_sdwa v52, v52, v50 dst_sel:DWORD dst_unused:UNUSED_PAD src0_sel:WORD_1 src1_sel:WORD_1
	v_add_f16_e32 v87, v50, v56
	v_sub_f16_e32 v88, v50, v56
	v_add_f16_sdwa v50, v50, v56 dst_sel:DWORD dst_unused:UNUSED_PAD src0_sel:WORD_1 src1_sel:WORD_1
	v_mul_i32_i24_e32 v39, 10, v14
	v_fmac_f16_e32 v4, 0x34f2, v8
	v_fmac_f16_e32 v5, 0x34f2, v8
	v_add_f16_e32 v8, v74, v92
	v_fmac_f16_e32 v7, 0x38b4, v73
	v_fmac_f16_e32 v11, 0xb8b4, v73
	v_lshrrev_b32_e32 v26, 16, v48
	v_lshl_add_u32 v39, v39, 2, 0
	v_add_f16_e32 v6, v6, v30
	v_fmac_f16_e32 v9, 0xb8b4, v33
	v_fmac_f16_e32 v43, 0x38b4, v33
	;; [unrolled: 1-line block ×4, first 2 shown]
	v_fma_f16 v8, -0.5, v76, v26
	v_fmac_f16_e32 v26, -0.5, v50
	v_pk_add_f16 v32, v32, v54
	v_sub_f16_e32 v93, v54, v56
	v_sub_f16_sdwa v94, v56, v54 dst_sel:DWORD dst_unused:UNUSED_PAD src0_sel:WORD_1 src1_sel:WORD_1
	v_sub_f16_sdwa v54, v54, v56 dst_sel:DWORD dst_unused:UNUSED_PAD src0_sel:WORD_1 src1_sel:WORD_1
	ds_write2_b32 v39, v49, v47 offset0:2 offset1:3
	v_fmac_f16_e32 v9, 0x34f2, v6
	v_fmac_f16_e32 v43, 0x34f2, v6
	v_fma_f16 v6, -0.5, v87, v48
	v_fmamk_f16 v47, v77, 0x3b9c, v26
	v_fmamk_f16 v48, v88, 0xbb9c, v8
	v_fmac_f16_e32 v26, 0xbb9c, v77
	v_add_f16_e32 v49, v52, v54
	v_fmamk_f16 v28, v73, 0xbb9c, v6
	v_fmac_f16_e32 v6, 0x3b9c, v73
	v_fmac_f16_e32 v47, 0xb8b4, v88
	v_add_f16_e32 v30, v75, v93
	v_add_f16_e32 v33, v78, v94
	v_fmac_f16_e32 v28, 0x38b4, v86
	v_fmac_f16_e32 v6, 0xb8b4, v86
	;; [unrolled: 1-line block ×6, first 2 shown]
	v_fmamk_f16 v99, v89, 0x3b9c, v79
	v_add_f16_e32 v81, v81, v96
	v_fmamk_f16 v96, v91, 0xbb9c, v83
	v_fmac_f16_e32 v8, 0x38b4, v77
	v_fmac_f16_e32 v28, 0x34f2, v30
	;; [unrolled: 1-line block ×4, first 2 shown]
	v_mul_f16_e32 v30, 0x3a79, v7
	v_mul_f16_e32 v7, 0xb8b4, v7
	;; [unrolled: 1-line block ×3, first 2 shown]
	v_fmac_f16_e32 v26, 0x34f2, v49
	v_fmac_f16_e32 v79, 0xbb9c, v89
	;; [unrolled: 1-line block ×3, first 2 shown]
	v_add_f16_e32 v85, v85, v98
	v_fmac_f16_e32 v8, 0x34f2, v33
	v_fmac_f16_e32 v30, 0x38b4, v48
	;; [unrolled: 1-line block ×4, first 2 shown]
	v_mul_f16_e32 v28, 0xbb9c, v28
	v_mul_f16_e32 v33, 0x34f2, v6
	;; [unrolled: 1-line block ×4, first 2 shown]
	v_fmac_f16_e32 v79, 0xb8b4, v80
	v_fmac_f16_e32 v83, 0x38b4, v84
	;; [unrolled: 1-line block ×3, first 2 shown]
	v_add_f16_e32 v64, v64, v72
	v_fmamk_f16 v72, v65, 0x3b9c, v100
	v_fmamk_f16 v98, v67, 0xbb9c, v62
	v_mul_f16_e32 v52, 0x3a79, v8
	v_fmac_f16_e32 v28, 0x34f2, v47
	v_fma_f16 v26, v26, 0x3b9c, -v33
	v_fma_f16 v6, v6, 0xbb9c, -v48
	;; [unrolled: 1-line block ×3, first 2 shown]
	v_fmac_f16_e32 v100, 0xbb9c, v65
	v_fmac_f16_e32 v62, 0x3b9c, v67
	;; [unrolled: 1-line block ×6, first 2 shown]
	v_fma_f16 v11, v11, 0xb8b4, -v52
	v_add_f16_e32 v47, v44, v50
	v_sub_f16_e32 v44, v44, v50
	v_add_f16_e32 v48, v31, v26
	v_sub_f16_e32 v26, v31, v26
	;; [unrolled: 2-line block ×6, first 2 shown]
	v_fmac_f16_e32 v100, 0xb8b4, v59
	v_fmac_f16_e32 v62, 0x38b4, v63
	v_mul_f16_e32 v43, 0x3a79, v79
	v_mul_f16_e32 v50, 0x3a79, v83
	v_fmac_f16_e32 v96, 0x34f2, v85
	v_mul_f16_e32 v101, 0x3a79, v99
	v_mul_f16_e32 v99, 0xb8b4, v99
	v_fmac_f16_e32 v72, 0x38b4, v59
	v_fmac_f16_e32 v98, 0xb8b4, v63
	v_add_f16_e32 v49, v5, v11
	v_sub_f16_e32 v5, v5, v11
	v_fmac_f16_e32 v100, 0x34f2, v60
	v_fmac_f16_e32 v62, 0x34f2, v64
	v_fma_f16 v11, v83, 0x38b4, -v43
	v_fma_f16 v43, v79, 0xb8b4, -v50
	v_fmac_f16_e32 v101, 0x38b4, v96
	v_fmac_f16_e32 v99, 0x3a79, v96
	;; [unrolled: 1-line block ×4, first 2 shown]
	v_add_f16_e32 v33, v51, v30
	v_sub_f16_e32 v30, v51, v30
	v_sub_f16_e32 v51, v53, v61
	;; [unrolled: 1-line block ×3, first 2 shown]
	v_add_f16_e32 v10, v100, v11
	v_add_f16_e32 v53, v62, v43
	;; [unrolled: 1-line block ×4, first 2 shown]
	v_sub_f16_e32 v50, v72, v101
	v_sub_f16_e32 v52, v98, v99
	;; [unrolled: 1-line block ×6, first 2 shown]
	v_pk_add_f16 v32, v32, v56
	v_pack_b32_f16 v10, v10, v53
	v_mul_i32_i24_e32 v53, 10, v25
	v_pack_b32_f16 v66, v66, v96
	v_pk_add_f16 v82, v27, v55
	v_pk_add_f16 v27, v27, v55 neg_lo:[0,1] neg_hi:[0,1]
	v_pack_b32_f16 v50, v50, v52
	v_pack_b32_f16 v29, v51, v29
	v_pack_b32_f16 v11, v11, v43
	v_pack_b32_f16 v1, v1, v3
	v_lshl_add_u32 v43, v53, 2, 0
	v_pk_add_f16 v3, v0, v32
	v_pack_b32_f16 v8, v33, v8
	ds_write2_b32 v39, v82, v66 offset1:1
	v_mov_b32_e32 v52, 0xcccd
	ds_write2_b32 v39, v10, v27 offset0:4 offset1:5
	ds_write2_b32 v39, v50, v29 offset0:6 offset1:7
	;; [unrolled: 1-line block ×3, first 2 shown]
	ds_write2_b32 v43, v3, v8 offset1:1
	v_pack_b32_f16 v1, v48, v28
	v_pack_b32_f16 v3, v47, v7
	v_pk_add_f16 v0, v0, v32 neg_lo:[0,1] neg_hi:[0,1]
	v_pack_b32_f16 v7, v31, v49
	v_and_b32_e32 v32, 0xff, v12
	v_pack_b32_f16 v4, v30, v4
	v_pack_b32_f16 v9, v44, v9
	v_mul_u32_u24_sdwa v33, v14, v52 dst_sel:DWORD dst_unused:UNUSED_PAD src0_sel:WORD_0 src1_sel:DWORD
	ds_write2_b32 v43, v3, v1 offset0:2 offset1:3
	ds_write2_b32 v43, v7, v0 offset0:4 offset1:5
	;; [unrolled: 1-line block ×3, first 2 shown]
	v_mul_lo_u16 v4, 0xcd, v32
	v_lshrrev_b32_e32 v60, 19, v33
	v_mov_b32_e32 v10, 4
	v_mul_u32_u24_sdwa v1, v25, v52 dst_sel:DWORD dst_unused:UNUSED_PAD src0_sel:WORD_0 src1_sel:DWORD
	v_pack_b32_f16 v2, v2, v5
	v_lshrrev_b16 v56, 11, v4
	v_mul_lo_u16 v8, v60, 10
	v_pack_b32_f16 v5, v26, v6
	v_lshrrev_b32_e32 v59, 19, v1
	v_mul_u32_u24_sdwa v1, v23, v52 dst_sel:DWORD dst_unused:UNUSED_PAD src0_sel:WORD_0 src1_sel:DWORD
	v_mul_lo_u16 v4, v56, 10
	v_sub_nc_u16 v62, v14, v8
	ds_write2_b32 v43, v5, v2 offset0:8 offset1:9
	s_waitcnt lgkmcnt(0)
	s_barrier
	v_sub_nc_u16 v51, v12, v4
	v_lshlrev_b32_sdwa v0, v10, v62 dst_sel:DWORD dst_unused:UNUSED_PAD src0_sel:DWORD src1_sel:WORD_0
	buffer_gl0_inv
	v_lshrrev_b32_e32 v54, 19, v1
	v_mul_u32_u24_sdwa v8, v22, v52 dst_sel:DWORD dst_unused:UNUSED_PAD src0_sel:WORD_0 src1_sel:DWORD
	v_lshlrev_b32_sdwa v4, v10, v51 dst_sel:DWORD dst_unused:UNUSED_PAD src0_sel:DWORD src1_sel:BYTE_0
	global_load_dwordx4 v[26:29], v0, s[8:9]
	v_add_nc_u32_e32 v30, 0xe00, v34
	v_add_nc_u32_e32 v44, 0x1a00, v34
	v_lshrrev_b32_e32 v33, 19, v8
	global_load_dwordx4 v[4:7], v4, s[8:9]
	v_mul_lo_u16 v0, v59, 10
	ds_read2_b32 v[30:31], v30 offset0:49 offset1:184
	v_add_nc_u32_e32 v71, 0x3400, v34
	v_mul_lo_u16 v8, v33, 10
	v_mul_u32_u24_e32 v60, 0xc8, v60
	v_sub_nc_u16 v61, v25, v0
	v_mul_u32_u24_e32 v59, 0xc8, v59
	v_sub_nc_u16 v53, v22, v8
	v_lshlrev_b32_sdwa v0, v10, v61 dst_sel:DWORD dst_unused:UNUSED_PAD src0_sel:DWORD src1_sel:WORD_0
	v_lshlrev_b32_sdwa v8, v10, v53 dst_sel:DWORD dst_unused:UNUSED_PAD src0_sel:DWORD src1_sel:WORD_0
	global_load_dwordx4 v[47:50], v0, s[8:9]
	v_mul_u32_u24_sdwa v0, v24, v52 dst_sel:DWORD dst_unused:UNUSED_PAD src0_sel:WORD_0 src1_sel:DWORD
	v_add_nc_u32_e32 v52, 0x2800, v34
	v_lshrrev_b32_e32 v57, 19, v0
	v_mul_lo_u16 v0, v57, 10
	v_sub_nc_u16 v58, v24, v0
	v_lshlrev_b32_sdwa v0, v10, v58 dst_sel:DWORD dst_unused:UNUSED_PAD src0_sel:DWORD src1_sel:WORD_0
	global_load_dwordx4 v[63:66], v0, s[8:9]
	v_mul_lo_u16 v0, v54, 10
	v_mul_u32_u24_e32 v54, 0xc8, v54
	v_sub_nc_u16 v55, v23, v0
	v_lshlrev_b32_sdwa v0, v10, v55 dst_sel:DWORD dst_unused:UNUSED_PAD src0_sel:DWORD src1_sel:WORD_0
	s_clause 0x1
	global_load_dwordx4 v[8:11], v8, s[8:9]
	global_load_dwordx4 v[0:3], v0, s[8:9]
	ds_read2_b32 v[67:68], v44 offset0:91 offset1:226
	ds_read2_b32 v[69:70], v52 offset0:5 offset1:140
	;; [unrolled: 1-line block ×3, first 2 shown]
	s_waitcnt lgkmcnt(3)
	v_lshrrev_b32_e32 v44, 16, v30
	s_waitcnt lgkmcnt(2)
	v_lshrrev_b32_e32 v52, 16, v67
	;; [unrolled: 2-line block ×4, first 2 shown]
	s_waitcnt vmcnt(5)
	v_mul_f16_sdwa v73, v44, v26 dst_sel:DWORD dst_unused:UNUSED_PAD src0_sel:DWORD src1_sel:WORD_1
	v_mul_f16_sdwa v85, v30, v26 dst_sel:DWORD dst_unused:UNUSED_PAD src0_sel:DWORD src1_sel:WORD_1
	v_mul_f16_sdwa v86, v67, v27 dst_sel:DWORD dst_unused:UNUSED_PAD src0_sel:DWORD src1_sel:WORD_1
	v_mul_f16_sdwa v87, v69, v28 dst_sel:DWORD dst_unused:UNUSED_PAD src0_sel:DWORD src1_sel:WORD_1
	v_mul_f16_sdwa v88, v71, v29 dst_sel:DWORD dst_unused:UNUSED_PAD src0_sel:DWORD src1_sel:WORD_1
	v_fma_f16 v89, v30, v26, -v73
	v_fmac_f16_e32 v85, v44, v26
	v_mul_f16_sdwa v26, v52, v27 dst_sel:DWORD dst_unused:UNUSED_PAD src0_sel:DWORD src1_sel:WORD_1
	v_fmac_f16_e32 v86, v52, v27
	v_lshrrev_b32_e32 v44, 16, v31
	v_mul_f16_sdwa v30, v74, v28 dst_sel:DWORD dst_unused:UNUSED_PAD src0_sel:DWORD src1_sel:WORD_1
	v_fmac_f16_e32 v87, v74, v28
	v_mul_f16_sdwa v52, v75, v29 dst_sel:DWORD dst_unused:UNUSED_PAD src0_sel:DWORD src1_sel:WORD_1
	v_add_nc_u32_e32 v74, 0x1200, v34
	v_fmac_f16_e32 v88, v75, v29
	v_fma_f16 v92, v67, v27, -v26
	v_fma_f16 v90, v69, v28, -v30
	;; [unrolled: 1-line block ×3, first 2 shown]
	ds_read2_b32 v[28:29], v74 offset0:63 offset1:198
	v_add_nc_u32_e32 v26, 0x1e00, v34
	s_waitcnt vmcnt(3)
	v_mul_f16_sdwa v73, v44, v47 dst_sel:DWORD dst_unused:UNUSED_PAD src0_sel:DWORD src1_sel:WORD_1
	v_mul_f16_sdwa v77, v31, v47 dst_sel:DWORD dst_unused:UNUSED_PAD src0_sel:DWORD src1_sel:WORD_1
	v_add_nc_u32_e32 v27, 0x2c00, v34
	v_add_nc_u32_e32 v69, 0x3800, v34
	v_lshrrev_b32_e32 v52, 16, v68
	v_fma_f16 v78, v31, v47, -v73
	ds_read2_b32 v[30:31], v26 offset0:105 offset1:240
	ds_read2_b32 v[93:94], v27 offset0:19 offset1:154
	;; [unrolled: 1-line block ×3, first 2 shown]
	v_lshrrev_b32_e32 v67, 16, v70
	v_mul_f16_sdwa v73, v52, v48 dst_sel:DWORD dst_unused:UNUSED_PAD src0_sel:DWORD src1_sel:WORD_1
	v_lshrrev_b32_e32 v71, 16, v72
	v_mul_f16_sdwa v80, v68, v48 dst_sel:DWORD dst_unused:UNUSED_PAD src0_sel:DWORD src1_sel:WORD_1
	v_mul_f16_sdwa v79, v70, v49 dst_sel:DWORD dst_unused:UNUSED_PAD src0_sel:DWORD src1_sel:WORD_1
	;; [unrolled: 1-line block ×3, first 2 shown]
	v_fma_f16 v82, v68, v48, -v73
	v_mul_f16_sdwa v69, v71, v50 dst_sel:DWORD dst_unused:UNUSED_PAD src0_sel:DWORD src1_sel:WORD_1
	v_fmac_f16_e32 v77, v44, v47
	s_waitcnt lgkmcnt(3)
	v_lshrrev_b32_e32 v68, 16, v28
	v_fma_f16 v83, v70, v49, -v74
	v_mul_f16_sdwa v81, v72, v50 dst_sel:DWORD dst_unused:UNUSED_PAD src0_sel:DWORD src1_sel:WORD_1
	v_fma_f16 v84, v72, v50, -v69
	v_fmac_f16_e32 v79, v67, v49
	v_fmac_f16_e32 v80, v52, v48
	v_lshrrev_b32_e32 v95, 16, v29
	v_fmac_f16_e32 v81, v71, v50
	s_waitcnt vmcnt(2)
	v_mul_f16_sdwa v44, v68, v63 dst_sel:DWORD dst_unused:UNUSED_PAD src0_sel:DWORD src1_sel:WORD_1
	s_waitcnt lgkmcnt(2)
	v_lshrrev_b32_e32 v47, 16, v30
	v_mul_f16_sdwa v70, v30, v64 dst_sel:DWORD dst_unused:UNUSED_PAD src0_sel:DWORD src1_sel:WORD_1
	s_waitcnt lgkmcnt(0)
	v_lshrrev_b32_e32 v49, 16, v26
	v_mul_f16_sdwa v72, v26, v66 dst_sel:DWORD dst_unused:UNUSED_PAD src0_sel:DWORD src1_sel:WORD_1
	v_fma_f16 v73, v28, v63, -v44
	v_lshrrev_b32_e32 v96, 16, v31
	v_fmac_f16_e32 v70, v47, v64
	v_mul_f16_sdwa v47, v47, v64 dst_sel:DWORD dst_unused:UNUSED_PAD src0_sel:DWORD src1_sel:WORD_1
	v_lshl_add_u32 v44, v21, 2, 0
	v_mul_f16_sdwa v69, v28, v63 dst_sel:DWORD dst_unused:UNUSED_PAD src0_sel:DWORD src1_sel:WORD_1
	v_lshrrev_b32_e32 v48, 16, v93
	v_mul_f16_sdwa v71, v93, v65 dst_sel:DWORD dst_unused:UNUSED_PAD src0_sel:DWORD src1_sel:WORD_1
	v_fmac_f16_e32 v72, v49, v66
	v_mul_f16_sdwa v49, v49, v66 dst_sel:DWORD dst_unused:UNUSED_PAD src0_sel:DWORD src1_sel:WORD_1
	v_fma_f16 v74, v30, v64, -v47
	s_waitcnt vmcnt(0)
	v_mul_f16_sdwa v30, v96, v1 dst_sel:DWORD dst_unused:UNUSED_PAD src0_sel:DWORD src1_sel:WORD_1
	v_lshrrev_b32_e32 v98, 16, v94
	ds_read_b32 v97, v44
	v_fmac_f16_e32 v69, v68, v63
	v_fmac_f16_e32 v71, v48, v65
	v_mul_f16_sdwa v48, v48, v65 dst_sel:DWORD dst_unused:UNUSED_PAD src0_sel:DWORD src1_sel:WORD_1
	v_mul_f16_sdwa v28, v95, v0 dst_sel:DWORD dst_unused:UNUSED_PAD src0_sel:DWORD src1_sel:WORD_1
	v_fma_f16 v76, v26, v66, -v49
	v_fma_f16 v66, v31, v1, -v30
	v_add_nc_u32_e32 v52, 0x1600, v34
	v_mul_f16_sdwa v63, v31, v1 dst_sel:DWORD dst_unused:UNUSED_PAD src0_sel:DWORD src1_sel:WORD_1
	v_mul_f16_sdwa v30, v98, v2 dst_sel:DWORD dst_unused:UNUSED_PAD src0_sel:DWORD src1_sel:WORD_1
	v_add_nc_u32_e32 v31, 0x2200, v34
	v_lshrrev_b32_e32 v99, 16, v27
	v_fma_f16 v75, v93, v65, -v48
	v_fma_f16 v65, v29, v0, -v28
	v_mul_f16_sdwa v26, v29, v0 dst_sel:DWORD dst_unused:UNUSED_PAD src0_sel:DWORD src1_sel:WORD_1
	ds_read2_b32 v[28:29], v52 offset0:77 offset1:212
	v_fma_f16 v67, v94, v2, -v30
	ds_read2_b32 v[30:31], v31 offset0:119 offset1:254
	v_mul_f16_sdwa v47, v99, v3 dst_sel:DWORD dst_unused:UNUSED_PAD src0_sel:DWORD src1_sel:WORD_1
	v_add_nc_u32_e32 v93, 0x3000, v34
	v_lshl_add_u32 v49, v24, 2, 0
	v_lshl_add_u32 v48, v23, 2, 0
	v_mad_i32_i24 v50, 0xffffffdc, v14, v39
	v_fma_f16 v68, v27, v3, -v47
	v_lshl_add_u32 v47, v22, 2, 0
	v_mul_f16_sdwa v64, v94, v2 dst_sel:DWORD dst_unused:UNUSED_PAD src0_sel:DWORD src1_sel:WORD_1
	ds_read2_b32 v[100:101], v93 offset0:33 offset1:168
	ds_read_b32 v102, v49
	ds_read_b32 v94, v48
	;; [unrolled: 1-line block ×4, first 2 shown]
	ds_read_b32 v104, v34 offset:15660
	s_waitcnt lgkmcnt(8)
	v_lshrrev_b32_e32 v105, 16, v97
	v_fmac_f16_e32 v26, v95, v0
	v_fmac_f16_e32 v63, v96, v1
	;; [unrolled: 1-line block ×3, first 2 shown]
	v_mul_f16_sdwa v95, v4, v97 dst_sel:DWORD dst_unused:UNUSED_PAD src0_sel:WORD_1 src1_sel:DWORD
	v_mul_f16_sdwa v0, v4, v105 dst_sel:DWORD dst_unused:UNUSED_PAD src0_sel:WORD_1 src1_sel:DWORD
	v_mul_f16_sdwa v27, v27, v3 dst_sel:DWORD dst_unused:UNUSED_PAD src0_sel:DWORD src1_sel:WORD_1
	s_waitcnt lgkmcnt(7)
	v_lshrrev_b32_e32 v1, 16, v29
	v_mul_f16_sdwa v96, v29, v5 dst_sel:DWORD dst_unused:UNUSED_PAD src0_sel:DWORD src1_sel:WORD_1
	v_fma_f16 v97, v4, v97, -v0
	s_waitcnt lgkmcnt(6)
	v_lshrrev_b32_e32 v0, 16, v31
	v_mul_f16_sdwa v98, v31, v6 dst_sel:DWORD dst_unused:UNUSED_PAD src0_sel:DWORD src1_sel:WORD_1
	v_fmac_f16_e32 v95, v4, v105
	v_fmac_f16_e32 v96, v1, v5
	s_waitcnt lgkmcnt(5)
	v_lshrrev_b32_e32 v2, 16, v101
	v_mul_f16_sdwa v1, v1, v5 dst_sel:DWORD dst_unused:UNUSED_PAD src0_sel:DWORD src1_sel:WORD_1
	v_fmac_f16_e32 v98, v0, v6
	v_mul_f16_sdwa v0, v0, v6 dst_sel:DWORD dst_unused:UNUSED_PAD src0_sel:DWORD src1_sel:WORD_1
	v_lshrrev_b32_e32 v105, 16, v28
	v_lshrrev_b32_e32 v106, 16, v30
	v_fmac_f16_e32 v27, v99, v3
	v_mul_f16_sdwa v99, v101, v7 dst_sel:DWORD dst_unused:UNUSED_PAD src0_sel:DWORD src1_sel:WORD_1
	v_mul_f16_sdwa v3, v2, v7 dst_sel:DWORD dst_unused:UNUSED_PAD src0_sel:DWORD src1_sel:WORD_1
	v_fma_f16 v29, v29, v5, -v1
	v_mul_f16_sdwa v1, v105, v8 dst_sel:DWORD dst_unused:UNUSED_PAD src0_sel:DWORD src1_sel:WORD_1
	v_fma_f16 v31, v31, v6, -v0
	v_mul_f16_sdwa v0, v106, v9 dst_sel:DWORD dst_unused:UNUSED_PAD src0_sel:DWORD src1_sel:WORD_1
	v_lshrrev_b32_e32 v107, 16, v100
	v_fmac_f16_e32 v99, v2, v7
	v_fma_f16 v101, v101, v7, -v3
	v_fma_f16 v5, v28, v8, -v1
	v_mul_f16_sdwa v2, v28, v8 dst_sel:DWORD dst_unused:UNUSED_PAD src0_sel:DWORD src1_sel:WORD_1
	v_fma_f16 v4, v30, v9, -v0
	v_mul_f16_sdwa v1, v107, v10 dst_sel:DWORD dst_unused:UNUSED_PAD src0_sel:DWORD src1_sel:WORD_1
	ds_read_b32 v28, v34
	v_mul_f16_sdwa v3, v30, v9 dst_sel:DWORD dst_unused:UNUSED_PAD src0_sel:DWORD src1_sel:WORD_1
	v_mul_f16_sdwa v0, v100, v10 dst_sel:DWORD dst_unused:UNUSED_PAD src0_sel:DWORD src1_sel:WORD_1
	v_fmac_f16_e32 v2, v105, v8
	v_fma_f16 v6, v100, v10, -v1
	v_sub_f16_e32 v8, v97, v29
	v_fmac_f16_e32 v3, v106, v9
	v_fmac_f16_e32 v0, v107, v10
	v_sub_f16_e32 v9, v101, v31
	v_sub_f16_e32 v10, v95, v96
	;; [unrolled: 1-line block ×3, first 2 shown]
	v_mov_b32_e32 v105, 0xc8
	s_waitcnt lgkmcnt(1)
	v_lshrrev_b32_e32 v30, 16, v104
	v_add_f16_e32 v8, v8, v9
	v_mul_f16_sdwa v1, v104, v11 dst_sel:DWORD dst_unused:UNUSED_PAD src0_sel:DWORD src1_sel:WORD_1
	v_add_f16_e32 v9, v10, v100
	v_mul_u32_u24_sdwa v10, v56, v105 dst_sel:DWORD dst_unused:UNUSED_PAD src0_sel:WORD_0 src1_sel:DWORD
	v_mov_b32_e32 v56, 2
	v_mul_f16_sdwa v7, v30, v11 dst_sel:DWORD dst_unused:UNUSED_PAD src0_sel:DWORD src1_sel:WORD_1
	v_fmac_f16_e32 v1, v30, v11
	v_add_f16_e32 v30, v29, v31
	v_add_f16_e32 v100, v96, v98
	v_lshlrev_b32_sdwa v112, v56, v51 dst_sel:DWORD dst_unused:UNUSED_PAD src0_sel:DWORD src1_sel:BYTE_0
	v_mad_i32_i24 v51, 0xffffffdc, v25, v43
	v_fma_f16 v7, v104, v11, -v7
	v_sub_f16_e32 v107, v97, v101
	v_sub_f16_e32 v111, v29, v31
	v_add_f16_e32 v114, v97, v101
	ds_read_b32 v113, v51
	s_waitcnt lgkmcnt(1)
	v_add_f16_e32 v104, v28, v97
	v_lshrrev_b32_e32 v11, 16, v28
	v_fma_f16 v30, -0.5, v30, v28
	v_sub_f16_e32 v109, v96, v98
	v_fmac_f16_e32 v28, -0.5, v114
	v_add_f16_e32 v104, v104, v29
	v_sub_f16_e32 v29, v29, v97
	v_add_f16_e32 v97, v95, v99
	v_add_f16_e32 v105, v11, v95
	v_fma_f16 v100, -0.5, v100, v11
	v_add_f16_e32 v104, v104, v31
	v_sub_f16_e32 v31, v31, v101
	v_fmac_f16_e32 v11, -0.5, v97
	v_sub_f16_e32 v106, v95, v99
	v_add_f16_e32 v105, v105, v96
	v_add_f16_e32 v104, v104, v101
	v_fmamk_f16 v101, v109, 0xbb9c, v28
	v_add_f16_e32 v29, v29, v31
	v_sub_f16_e32 v31, v96, v95
	v_fmac_f16_e32 v28, 0x3b9c, v109
	v_sub_f16_e32 v95, v98, v99
	v_fmamk_f16 v96, v111, 0x3b9c, v11
	v_fmamk_f16 v108, v106, 0x3b9c, v30
	v_fmac_f16_e32 v101, 0x38b4, v106
	v_fmac_f16_e32 v28, 0xb8b4, v106
	v_add_f16_e32 v31, v31, v95
	v_fmac_f16_e32 v11, 0xbb9c, v111
	v_fmac_f16_e32 v96, 0xb8b4, v107
	;; [unrolled: 1-line block ×3, first 2 shown]
	v_fmamk_f16 v110, v107, 0xbb9c, v100
	v_fmac_f16_e32 v108, 0x38b4, v109
	v_fmac_f16_e32 v101, 0x34f2, v29
	;; [unrolled: 1-line block ×6, first 2 shown]
	v_sub_f16_e32 v29, v89, v92
	v_sub_f16_e32 v95, v91, v90
	v_add_f16_e32 v105, v105, v98
	v_fmac_f16_e32 v110, 0xb8b4, v111
	v_fmac_f16_e32 v108, 0x34f2, v8
	;; [unrolled: 1-line block ×4, first 2 shown]
	v_pack_b32_f16 v31, v101, v96
	v_fmac_f16_e32 v30, 0x34f2, v8
	v_add_f16_e32 v8, v29, v95
	v_lshrrev_b32_e32 v95, 16, v103
	v_add_f16_e32 v96, v92, v90
	v_add_f16_e32 v97, v86, v87
	;; [unrolled: 1-line block ×3, first 2 shown]
	v_fmac_f16_e32 v110, 0x34f2, v9
	v_fmac_f16_e32 v100, 0x38b4, v111
	v_add_f16_e32 v98, v103, v89
	v_add_f16_e32 v99, v95, v85
	v_fma_f16 v96, -0.5, v96, v103
	v_sub_f16_e32 v101, v85, v88
	v_fma_f16 v97, -0.5, v97, v95
	v_sub_f16_e32 v106, v89, v91
	v_pack_b32_f16 v104, v104, v105
	v_pack_b32_f16 v105, v108, v110
	v_fmac_f16_e32 v100, 0x34f2, v9
	v_sub_f16_e32 v9, v85, v86
	v_sub_f16_e32 v29, v88, v87
	v_add_f16_e32 v98, v98, v92
	v_add_f16_e32 v99, v99, v86
	v_fmamk_f16 v107, v101, 0x3b9c, v96
	v_sub_f16_e32 v108, v86, v87
	v_fmamk_f16 v109, v106, 0xbb9c, v97
	v_sub_f16_e32 v110, v92, v90
	v_add_f16_e32 v9, v9, v29
	v_add_f16_e32 v29, v98, v90
	;; [unrolled: 1-line block ×3, first 2 shown]
	v_fmac_f16_e32 v107, 0x38b4, v108
	v_fmac_f16_e32 v109, 0xb8b4, v110
	v_lshlrev_b32_sdwa v62, v56, v62 dst_sel:DWORD dst_unused:UNUSED_PAD src0_sel:DWORD src1_sel:WORD_0
	v_add_f16_e32 v29, v29, v91
	v_add_f16_e32 v98, v98, v88
	v_fmac_f16_e32 v107, 0x34f2, v8
	v_fmac_f16_e32 v109, 0x34f2, v9
	v_add3_u32 v10, 0, v10, v112
	v_pack_b32_f16 v11, v28, v11
	v_pack_b32_f16 v28, v30, v100
	v_add3_u32 v30, 0, v60, v62
	v_pack_b32_f16 v29, v29, v98
	v_pack_b32_f16 v60, v107, v109
	s_waitcnt lgkmcnt(0)
	s_barrier
	buffer_gl0_inv
	ds_write2_b32 v10, v104, v105 offset1:10
	ds_write2_b32 v10, v31, v11 offset0:20 offset1:30
	v_add_f16_e32 v11, v89, v91
	ds_write_b32 v10, v28 offset:160
	ds_write2_b32 v30, v29, v60 offset1:10
	v_add_f16_e32 v10, v85, v88
	v_sub_f16_e32 v28, v92, v89
	v_sub_f16_e32 v29, v86, v85
	v_fmac_f16_e32 v103, -0.5, v11
	v_sub_f16_e32 v11, v90, v91
	v_fmac_f16_e32 v95, -0.5, v10
	v_sub_f16_e32 v10, v87, v88
	v_fmac_f16_e32 v97, 0x3b9c, v106
	v_fmamk_f16 v31, v108, 0xbb9c, v103
	v_fmac_f16_e32 v103, 0x3b9c, v108
	v_add_f16_e32 v11, v28, v11
	v_fmamk_f16 v28, v110, 0x3b9c, v95
	v_add_f16_e32 v10, v29, v10
	v_fmac_f16_e32 v31, 0x38b4, v101
	v_fmac_f16_e32 v103, 0xb8b4, v101
	;; [unrolled: 1-line block ×9, first 2 shown]
	v_lshrrev_b32_e32 v11, 16, v113
	v_fmac_f16_e32 v97, 0x34f2, v9
	v_add_f16_e32 v9, v113, v78
	v_fmac_f16_e32 v95, 0x34f2, v10
	v_pack_b32_f16 v10, v31, v28
	v_add_f16_e32 v28, v11, v77
	v_fmac_f16_e32 v96, 0xbb9c, v101
	v_add_f16_e32 v9, v9, v82
	v_lshlrev_b32_sdwa v61, v56, v61 dst_sel:DWORD dst_unused:UNUSED_PAD src0_sel:DWORD src1_sel:WORD_0
	v_sub_f16_e32 v29, v84, v83
	v_add_f16_e32 v28, v28, v80
	v_fmac_f16_e32 v96, 0xb8b4, v108
	v_add_f16_e32 v9, v9, v83
	v_add_f16_e32 v85, v82, v83
	v_add_f16_e32 v86, v80, v79
	v_add_f16_e32 v28, v28, v79
	v_fmac_f16_e32 v96, 0x34f2, v8
	v_sub_f16_e32 v8, v78, v82
	v_add_f16_e32 v9, v9, v84
	v_add3_u32 v59, 0, v59, v61
	v_add_f16_e32 v28, v28, v81
	v_sub_f16_e32 v61, v78, v84
	v_sub_f16_e32 v88, v82, v83
	v_add_f16_e32 v89, v78, v84
	v_sub_f16_e32 v78, v82, v78
	v_sub_f16_e32 v82, v83, v84
	v_add_f16_e32 v83, v77, v81
	v_add_f16_e32 v8, v8, v29
	v_sub_f16_e32 v29, v77, v80
	v_sub_f16_e32 v62, v81, v79
	v_fma_f16 v85, -0.5, v85, v113
	v_sub_f16_e32 v87, v77, v81
	v_pack_b32_f16 v9, v9, v28
	v_fma_f16 v28, -0.5, v86, v11
	v_sub_f16_e32 v86, v80, v79
	v_fmac_f16_e32 v113, -0.5, v89
	v_fmac_f16_e32 v11, -0.5, v83
	v_add_f16_e32 v29, v29, v62
	v_fmamk_f16 v62, v87, 0x3b9c, v85
	v_fmamk_f16 v90, v61, 0xbb9c, v28
	v_add_f16_e32 v78, v78, v82
	v_fmamk_f16 v82, v86, 0xbb9c, v113
	v_sub_f16_e32 v77, v80, v77
	v_fmac_f16_e32 v113, 0x3b9c, v86
	v_sub_f16_e32 v79, v79, v81
	v_fmamk_f16 v80, v88, 0x3b9c, v11
	v_fmac_f16_e32 v11, 0xbb9c, v88
	v_fmac_f16_e32 v85, 0xbb9c, v87
	;; [unrolled: 1-line block ×7, first 2 shown]
	v_add_f16_e32 v77, v77, v79
	v_fmac_f16_e32 v80, 0xb8b4, v61
	v_fmac_f16_e32 v11, 0x38b4, v61
	;; [unrolled: 1-line block ×10, first 2 shown]
	v_pack_b32_f16 v31, v103, v95
	v_fmac_f16_e32 v85, 0x34f2, v8
	v_fmac_f16_e32 v28, 0x34f2, v29
	v_pack_b32_f16 v60, v96, v97
	v_pack_b32_f16 v61, v62, v90
	;; [unrolled: 1-line block ×4, first 2 shown]
	ds_write2_b32 v30, v10, v31 offset0:20 offset1:30
	ds_write_b32 v30, v60 offset:160
	ds_write2_b32 v59, v9, v61 offset1:10
	ds_write2_b32 v59, v62, v11 offset0:20 offset1:30
	v_pack_b32_f16 v8, v85, v28
	v_lshrrev_b32_e32 v11, 16, v102
	v_sub_f16_e32 v9, v73, v74
	v_sub_f16_e32 v10, v76, v75
	;; [unrolled: 1-line block ×4, first 2 shown]
	ds_write_b32 v59, v8 offset:160
	v_add_f16_e32 v8, v102, v73
	v_add_f16_e32 v30, v11, v69
	;; [unrolled: 1-line block ×4, first 2 shown]
	v_lshlrev_b32_sdwa v28, v56, v58 dst_sel:DWORD dst_unused:UNUSED_PAD src0_sel:DWORD src1_sel:WORD_0
	v_add_f16_e32 v8, v8, v74
	v_add_f16_e32 v29, v30, v70
	;; [unrolled: 1-line block ×3, first 2 shown]
	v_mul_u32_u24_e32 v31, 0xc8, v57
	v_add_f16_e32 v57, v70, v71
	v_add_f16_e32 v8, v8, v75
	v_add_f16_e32 v29, v29, v71
	v_fma_f16 v30, -0.5, v30, v102
	v_sub_f16_e32 v58, v69, v72
	v_fma_f16 v57, -0.5, v57, v11
	v_add_f16_e32 v8, v8, v76
	v_add_f16_e32 v29, v29, v72
	v_sub_f16_e32 v59, v73, v76
	v_sub_f16_e32 v77, v74, v75
	v_add3_u32 v28, 0, v31, v28
	v_sub_f16_e32 v31, v74, v73
	v_pack_b32_f16 v8, v8, v29
	v_add_f16_e32 v29, v73, v76
	v_add_f16_e32 v74, v69, v72
	v_fmamk_f16 v60, v58, 0x3b9c, v30
	v_sub_f16_e32 v61, v70, v71
	v_fmamk_f16 v62, v59, 0xbb9c, v57
	v_sub_f16_e32 v73, v75, v76
	v_fmac_f16_e32 v102, -0.5, v29
	v_fmac_f16_e32 v11, -0.5, v74
	v_fmac_f16_e32 v60, 0x38b4, v61
	v_fmac_f16_e32 v62, 0xb8b4, v77
	v_add_f16_e32 v29, v31, v73
	v_fmamk_f16 v31, v61, 0xbb9c, v102
	v_sub_f16_e32 v69, v70, v69
	v_sub_f16_e32 v70, v71, v72
	v_fmamk_f16 v71, v77, 0x3b9c, v11
	v_fmac_f16_e32 v60, 0x34f2, v9
	v_fmac_f16_e32 v62, 0x34f2, v10
	;; [unrolled: 1-line block ×4, first 2 shown]
	v_add_f16_e32 v69, v69, v70
	v_fmac_f16_e32 v71, 0xb8b4, v59
	v_fmac_f16_e32 v30, 0xbb9c, v58
	;; [unrolled: 1-line block ×5, first 2 shown]
	v_pack_b32_f16 v60, v60, v62
	v_fmac_f16_e32 v31, 0x34f2, v29
	v_fmac_f16_e32 v71, 0x34f2, v69
	;; [unrolled: 1-line block ×6, first 2 shown]
	ds_write2_b32 v28, v8, v60 offset1:10
	v_pack_b32_f16 v8, v31, v71
	v_sub_f16_e32 v29, v65, v66
	v_sub_f16_e32 v31, v68, v67
	v_fmac_f16_e32 v30, 0x34f2, v9
	v_sub_f16_e32 v9, v26, v63
	v_sub_f16_e32 v58, v27, v64
	v_fmac_f16_e32 v57, 0x34f2, v10
	v_fmac_f16_e32 v11, 0x34f2, v69
	v_add_f16_e32 v10, v29, v31
	v_lshrrev_b32_e32 v29, 16, v94
	v_add_f16_e32 v31, v66, v67
	v_add_f16_e32 v9, v9, v58
	;; [unrolled: 1-line block ×3, first 2 shown]
	v_pack_b32_f16 v30, v30, v57
	v_add_f16_e32 v57, v65, v68
	v_pack_b32_f16 v11, v102, v11
	v_add_f16_e32 v59, v94, v65
	v_add_f16_e32 v60, v29, v26
	v_fma_f16 v31, -0.5, v31, v94
	v_sub_f16_e32 v61, v26, v27
	v_fma_f16 v58, -0.5, v58, v29
	v_sub_f16_e32 v62, v65, v68
	v_sub_f16_e32 v70, v63, v64
	v_fmac_f16_e32 v94, -0.5, v57
	v_add_f16_e32 v59, v59, v66
	v_add_f16_e32 v60, v60, v63
	v_fmamk_f16 v69, v61, 0x3b9c, v31
	v_fmamk_f16 v71, v62, 0xbb9c, v58
	v_sub_f16_e32 v72, v66, v67
	ds_write2_b32 v28, v8, v11 offset0:20 offset1:30
	v_fmac_f16_e32 v31, 0xbb9c, v61
	ds_write_b32 v28, v30 offset:160
	v_sub_f16_e32 v8, v66, v65
	v_sub_f16_e32 v11, v67, v68
	v_fmamk_f16 v28, v70, 0xbb9c, v94
	v_fmac_f16_e32 v94, 0x3b9c, v70
	v_fmac_f16_e32 v58, 0x3b9c, v62
	v_add_f16_e32 v59, v59, v67
	v_add_f16_e32 v60, v60, v64
	v_fmac_f16_e32 v69, 0x38b4, v70
	v_fmac_f16_e32 v71, 0xb8b4, v72
	;; [unrolled: 1-line block ×3, first 2 shown]
	v_add_f16_e32 v8, v8, v11
	v_fmac_f16_e32 v28, 0x38b4, v61
	v_fmac_f16_e32 v94, 0xb8b4, v61
	;; [unrolled: 1-line block ×3, first 2 shown]
	v_lshlrev_b32_sdwa v55, v56, v55 dst_sel:DWORD dst_unused:UNUSED_PAD src0_sel:DWORD src1_sel:WORD_0
	v_add_f16_e32 v59, v59, v68
	v_add_f16_e32 v60, v60, v27
	v_fmac_f16_e32 v69, 0x34f2, v10
	v_fmac_f16_e32 v71, 0x34f2, v9
	v_add_f16_e32 v30, v26, v27
	v_fmac_f16_e32 v31, 0x34f2, v10
	v_sub_f16_e32 v10, v63, v26
	v_sub_f16_e32 v11, v64, v27
	v_fmac_f16_e32 v28, 0x34f2, v8
	v_fmac_f16_e32 v94, 0x34f2, v8
	;; [unrolled: 1-line block ×3, first 2 shown]
	v_sub_f16_e32 v8, v5, v4
	v_sub_f16_e32 v9, v7, v6
	v_add3_u32 v54, 0, v54, v55
	v_pack_b32_f16 v55, v59, v60
	v_pack_b32_f16 v59, v69, v71
	v_fmac_f16_e32 v29, -0.5, v30
	v_add_f16_e32 v10, v10, v11
	v_add_f16_e32 v11, v4, v6
	;; [unrolled: 1-line block ×4, first 2 shown]
	ds_write2_b32 v54, v55, v59 offset1:10
	v_fmamk_f16 v26, v72, 0x3b9c, v29
	v_fmac_f16_e32 v29, 0xbb9c, v72
	v_fma_f16 v11, -0.5, v11, v93
	v_sub_f16_e32 v27, v2, v1
	v_lshrrev_b32_e32 v30, 16, v93
	v_add_f16_e32 v55, v93, v5
	v_fmac_f16_e32 v93, -0.5, v9
	v_sub_f16_e32 v9, v3, v0
	v_fmac_f16_e32 v26, 0xb8b4, v62
	v_fmac_f16_e32 v29, 0x38b4, v62
	v_fmamk_f16 v57, v27, 0x3b9c, v11
	v_fmac_f16_e32 v11, 0xbb9c, v27
	v_sub_f16_e32 v59, v4, v5
	v_sub_f16_e32 v60, v6, v7
	v_fmamk_f16 v61, v9, 0xbb9c, v93
	v_fmac_f16_e32 v93, 0x3b9c, v9
	v_add_f16_e32 v55, v55, v4
	v_fmac_f16_e32 v57, 0x38b4, v9
	v_fmac_f16_e32 v11, 0xb8b4, v9
	v_add_f16_e32 v9, v59, v60
	v_fmac_f16_e32 v61, 0x38b4, v27
	v_fmac_f16_e32 v93, 0xb8b4, v27
	;; [unrolled: 1-line block ×4, first 2 shown]
	v_add_f16_e32 v10, v55, v6
	v_fmac_f16_e32 v57, 0x34f2, v8
	v_fmac_f16_e32 v11, 0x34f2, v8
	;; [unrolled: 1-line block ×4, first 2 shown]
	v_add_f16_e32 v8, v3, v0
	v_add_f16_e32 v9, v10, v7
	v_sub_f16_e32 v5, v5, v7
	v_sub_f16_e32 v7, v2, v3
	;; [unrolled: 1-line block ×3, first 2 shown]
	v_add_f16_e32 v55, v30, v2
	v_fma_f16 v8, -0.5, v8, v30
	v_add_f16_e32 v27, v2, v1
	v_sub_f16_e32 v4, v4, v6
	v_add_f16_e32 v6, v7, v10
	v_add_f16_e32 v10, v55, v3
	v_fmamk_f16 v7, v5, 0xbb9c, v8
	v_fmac_f16_e32 v30, -0.5, v27
	v_sub_f16_e32 v2, v3, v2
	v_fmac_f16_e32 v8, 0x3b9c, v5
	v_sub_f16_e32 v3, v0, v1
	v_add_f16_e32 v0, v10, v0
	v_fmac_f16_e32 v7, 0xb8b4, v4
	v_fmamk_f16 v27, v4, 0x3b9c, v30
	v_fmac_f16_e32 v30, 0xbb9c, v4
	v_fmac_f16_e32 v8, 0x38b4, v4
	v_add_f16_e32 v0, v0, v1
	v_mul_lo_u16 v1, v32, 41
	v_add_f16_e32 v2, v2, v3
	v_fmac_f16_e32 v27, 0xb8b4, v5
	v_fmac_f16_e32 v30, 0x38b4, v5
	;; [unrolled: 1-line block ×4, first 2 shown]
	v_pack_b32_f16 v3, v28, v26
	v_pack_b32_f16 v4, v94, v29
	v_lshlrev_b32_sdwa v5, v56, v53 dst_sel:DWORD dst_unused:UNUSED_PAD src0_sel:DWORD src1_sel:WORD_0
	v_mul_u32_u24_e32 v6, 0xc8, v33
	v_lshrrev_b16 v1, 11, v1
	v_mov_b32_e32 v55, 0x147b
	ds_write2_b32 v54, v3, v4 offset0:20 offset1:30
	v_fmac_f16_e32 v27, 0x34f2, v2
	v_add3_u32 v3, 0, v6, v5
	v_mul_lo_u16 v4, v1, 50
	v_lshrrev_b16 v6, 1, v14
	v_fmac_f16_e32 v30, 0x34f2, v2
	v_pack_b32_f16 v2, v31, v58
	v_pack_b32_f16 v0, v9, v0
	v_sub_nc_u16 v29, v12, v4
	v_mul_u32_u24_sdwa v4, v6, v55 dst_sel:DWORD dst_unused:UNUSED_PAD src0_sel:WORD_0 src1_sel:DWORD
	v_pack_b32_f16 v5, v57, v7
	v_pack_b32_f16 v7, v61, v27
	;; [unrolled: 1-line block ×4, first 2 shown]
	ds_write_b32 v54, v2 offset:160
	ds_write2_b32 v3, v0, v5 offset1:10
	ds_write2_b32 v3, v7, v9 offset0:20 offset1:30
	v_lshrrev_b32_e32 v7, 17, v4
	v_lshrrev_b16 v5, 1, v25
	ds_write_b32 v3, v6 offset:160
	v_mov_b32_e32 v57, 3
	v_lshrrev_b16 v4, 1, v24
	v_mul_lo_u16 v3, v7, 50
	v_mul_u32_u24_sdwa v2, v5, v55 dst_sel:DWORD dst_unused:UNUSED_PAD src0_sel:WORD_0 src1_sel:DWORD
	s_waitcnt lgkmcnt(0)
	v_lshlrev_b32_sdwa v0, v57, v29 dst_sel:DWORD dst_unused:UNUSED_PAD src0_sel:DWORD src1_sel:BYTE_0
	s_barrier
	v_sub_nc_u16 v9, v14, v3
	v_lshrrev_b32_e32 v2, 17, v2
	buffer_gl0_inv
	global_load_dwordx2 v[53:54], v0, s[8:9] offset:160
	v_mul_u32_u24_sdwa v8, v4, v55 dst_sel:DWORD dst_unused:UNUSED_PAD src0_sel:WORD_0 src1_sel:DWORD
	v_lshlrev_b32_sdwa v3, v57, v9 dst_sel:DWORD dst_unused:UNUSED_PAD src0_sel:DWORD src1_sel:WORD_0
	v_lshlrev_b32_sdwa v29, v56, v29 dst_sel:DWORD dst_unused:UNUSED_PAD src0_sel:DWORD src1_sel:BYTE_0
	v_mul_u32_u24_e32 v7, 0x258, v7
	v_lshlrev_b32_sdwa v9, v56, v9 dst_sel:DWORD dst_unused:UNUSED_PAD src0_sel:DWORD src1_sel:WORD_0
	global_load_dwordx2 v[66:67], v3, s[8:9] offset:160
	v_mul_lo_u16 v0, v2, 50
	v_mul_u32_u24_e32 v2, 0x258, v2
	v_sub_nc_u16 v6, v25, v0
	v_lshrrev_b32_e32 v0, 17, v8
	v_lshrrev_b16 v8, 1, v23
	v_lshlrev_b32_sdwa v3, v57, v6 dst_sel:DWORD dst_unused:UNUSED_PAD src0_sel:DWORD src1_sel:WORD_0
	v_mul_lo_u16 v10, v0, 50
	v_mul_u32_u24_sdwa v11, v8, v55 dst_sel:DWORD dst_unused:UNUSED_PAD src0_sel:WORD_0 src1_sel:DWORD
	v_lshlrev_b32_sdwa v6, v56, v6 dst_sel:DWORD dst_unused:UNUSED_PAD src0_sel:DWORD src1_sel:WORD_0
	v_mul_u32_u24_e32 v0, 0x258, v0
	global_load_dwordx2 v[68:69], v3, s[8:9] offset:160
	v_sub_nc_u16 v31, v24, v10
	v_lshrrev_b16 v10, 1, v22
	v_add3_u32 v2, 0, v2, v6
	v_mul_u32_u24_sdwa v27, v10, v55 dst_sel:DWORD dst_unused:UNUSED_PAD src0_sel:WORD_0 src1_sel:DWORD
	v_lshrrev_b32_e32 v32, 17, v27
	v_lshrrev_b16 v27, 1, v21
	v_mul_lo_u16 v28, v32, 50
	v_mul_u32_u24_sdwa v33, v27, v55 dst_sel:DWORD dst_unused:UNUSED_PAD src0_sel:WORD_0 src1_sel:DWORD
	v_sub_nc_u16 v62, v22, v28
	v_lshrrev_b32_e32 v33, 17, v33
	v_lshlrev_b32_sdwa v28, v57, v62 dst_sel:DWORD dst_unused:UNUSED_PAD src0_sel:DWORD src1_sel:WORD_0
	v_mul_lo_u16 v59, v33, 50
	global_load_dwordx2 v[74:75], v28, s[8:9] offset:160
	v_lshrrev_b32_e32 v3, 17, v11
	v_sub_nc_u16 v65, v21, v59
	v_lshlrev_b32_sdwa v11, v57, v31 dst_sel:DWORD dst_unused:UNUSED_PAD src0_sel:DWORD src1_sel:WORD_0
	v_lshlrev_b32_sdwa v31, v56, v31 dst_sel:DWORD dst_unused:UNUSED_PAD src0_sel:DWORD src1_sel:WORD_0
	v_mul_lo_u16 v26, v3, 50
	v_lshlrev_b32_sdwa v60, v57, v65 dst_sel:DWORD dst_unused:UNUSED_PAD src0_sel:DWORD src1_sel:WORD_0
	global_load_dwordx2 v[70:71], v11, s[8:9] offset:160
	v_add3_u32 v0, 0, v0, v31
	v_mul_u32_u24_e32 v3, 0x258, v3
	v_sub_nc_u16 v30, v23, v26
	global_load_dwordx2 v[76:77], v60, s[8:9] offset:160
	v_lshrrev_b16 v26, 1, v20
	v_lshlrev_b32_sdwa v11, v57, v30 dst_sel:DWORD dst_unused:UNUSED_PAD src0_sel:DWORD src1_sel:WORD_0
	v_lshlrev_b32_sdwa v30, v56, v30 dst_sel:DWORD dst_unused:UNUSED_PAD src0_sel:DWORD src1_sel:WORD_0
	global_load_dwordx2 v[72:73], v11, s[8:9] offset:160
	v_mul_u32_u24_sdwa v11, v26, v55 dst_sel:DWORD dst_unused:UNUSED_PAD src0_sel:WORD_0 src1_sel:DWORD
	v_add3_u32 v3, 0, v3, v30
	v_lshlrev_b32_sdwa v30, v56, v62 dst_sel:DWORD dst_unused:UNUSED_PAD src0_sel:DWORD src1_sel:WORD_0
	v_lshrrev_b32_e32 v58, 17, v11
	v_lshrrev_b16 v11, 1, v19
	v_mul_lo_u16 v28, v58, 50
	v_mul_u32_u24_sdwa v59, v11, v55 dst_sel:DWORD dst_unused:UNUSED_PAD src0_sel:WORD_0 src1_sel:DWORD
	v_sub_nc_u16 v64, v20, v28
	v_lshrrev_b32_e32 v61, 17, v59
	v_lshrrev_b16 v28, 1, v18
	v_lshlrev_b32_sdwa v59, v57, v64 dst_sel:DWORD dst_unused:UNUSED_PAD src0_sel:DWORD src1_sel:WORD_0
	v_mul_lo_u16 v60, v61, 50
	v_mul_u32_u24_sdwa v55, v28, v55 dst_sel:DWORD dst_unused:UNUSED_PAD src0_sel:WORD_0 src1_sel:DWORD
	global_load_dwordx2 v[78:79], v59, s[8:9] offset:160
	v_sub_nc_u16 v63, v19, v60
	v_lshrrev_b32_e32 v59, 17, v55
	v_lshlrev_b32_sdwa v55, v57, v63 dst_sel:DWORD dst_unused:UNUSED_PAD src0_sel:DWORD src1_sel:WORD_0
	v_mul_lo_u16 v60, v59, 50
	global_load_dwordx2 v[80:81], v55, s[8:9] offset:160
	v_sub_nc_u16 v60, v18, v60
	v_lshlrev_b32_sdwa v55, v57, v60 dst_sel:DWORD dst_unused:UNUSED_PAD src0_sel:DWORD src1_sel:WORD_0
	global_load_dwordx2 v[82:83], v55, s[8:9] offset:160
	ds_read2_b32 v[84:85], v46 offset0:70 offset1:205
	ds_read2_b32 v[86:87], v38 offset0:12 offset1:147
	;; [unrolled: 1-line block ×4, first 2 shown]
	s_waitcnt lgkmcnt(3)
	v_lshrrev_b32_e32 v55, 16, v84
	s_waitcnt lgkmcnt(2)
	v_lshrrev_b32_e32 v93, 16, v86
	v_lshrrev_b32_e32 v94, 16, v85
	;; [unrolled: 1-line block ×3, first 2 shown]
	s_waitcnt lgkmcnt(0)
	v_lshrrev_b32_e32 v100, 16, v91
	s_waitcnt vmcnt(9)
	v_mul_f16_sdwa v92, v53, v84 dst_sel:DWORD dst_unused:UNUSED_PAD src0_sel:WORD_1 src1_sel:DWORD
	v_mul_f16_sdwa v95, v54, v86 dst_sel:DWORD dst_unused:UNUSED_PAD src0_sel:WORD_1 src1_sel:DWORD
	;; [unrolled: 1-line block ×3, first 2 shown]
	v_fmac_f16_e32 v92, v53, v55
	v_mul_f16_sdwa v55, v53, v55 dst_sel:DWORD dst_unused:UNUSED_PAD src0_sel:WORD_1 src1_sel:DWORD
	s_waitcnt vmcnt(8)
	v_mul_f16_sdwa v97, v94, v66 dst_sel:DWORD dst_unused:UNUSED_PAD src0_sel:DWORD src1_sel:WORD_1
	v_fmac_f16_e32 v95, v54, v93
	v_fma_f16 v86, v54, v86, -v96
	v_mul_f16_sdwa v96, v87, v67 dst_sel:DWORD dst_unused:UNUSED_PAD src0_sel:DWORD src1_sel:WORD_1
	v_fma_f16 v84, v53, v84, -v55
	v_mul_f16_sdwa v53, v98, v67 dst_sel:DWORD dst_unused:UNUSED_PAD src0_sel:DWORD src1_sel:WORD_1
	;; [unrolled: 2-line block ×3, first 2 shown]
	v_fmac_f16_e32 v96, v98, v67
	v_lshrrev_b32_e32 v55, 16, v88
	v_fma_f16 v87, v87, v67, -v53
	ds_read2_b32 v[53:54], v35 offset0:98 offset1:233
	v_fmac_f16_e32 v85, v94, v66
	ds_read2_b32 v[66:67], v37 offset0:40 offset1:175
	v_lshrrev_b32_e32 v94, 16, v90
	v_lshrrev_b32_e32 v98, 16, v89
	s_waitcnt vmcnt(7)
	v_mul_f16_sdwa v97, v88, v68 dst_sel:DWORD dst_unused:UNUSED_PAD src0_sel:DWORD src1_sel:WORD_1
	v_mul_f16_sdwa v99, v90, v69 dst_sel:DWORD dst_unused:UNUSED_PAD src0_sel:DWORD src1_sel:WORD_1
	v_add_f16_e32 v116, v92, v95
	v_mul_f16_sdwa v101, v94, v69 dst_sel:DWORD dst_unused:UNUSED_PAD src0_sel:DWORD src1_sel:WORD_1
	v_fmac_f16_e32 v97, v55, v68
	v_mul_f16_sdwa v55, v55, v68 dst_sel:DWORD dst_unused:UNUSED_PAD src0_sel:DWORD src1_sel:WORD_1
	v_fmac_f16_e32 v99, v94, v69
	v_fma_f16 v90, v90, v69, -v101
	v_fma_f16 v88, v88, v68, -v55
	ds_read2_b32 v[68:69], v42 offset0:112 offset1:247
	s_waitcnt lgkmcnt(2)
	v_lshrrev_b32_e32 v55, 16, v53
	v_lshrrev_b32_e32 v103, 16, v54
	s_waitcnt lgkmcnt(1)
	v_lshrrev_b32_e32 v104, 16, v67
	s_waitcnt vmcnt(6)
	v_mul_f16_sdwa v107, v54, v74 dst_sel:DWORD dst_unused:UNUSED_PAD src0_sel:DWORD src1_sel:WORD_1
	v_fmac_f16_e32 v107, v103, v74
	s_waitcnt vmcnt(5)
	v_mul_f16_sdwa v102, v98, v70 dst_sel:DWORD dst_unused:UNUSED_PAD src0_sel:DWORD src1_sel:WORD_1
	v_mul_f16_sdwa v94, v100, v71 dst_sel:DWORD dst_unused:UNUSED_PAD src0_sel:DWORD src1_sel:WORD_1
	v_fma_f16 v101, v89, v70, -v102
	v_mul_f16_sdwa v89, v89, v70 dst_sel:DWORD dst_unused:UNUSED_PAD src0_sel:DWORD src1_sel:WORD_1
	v_fma_f16 v94, v91, v71, -v94
	v_mul_f16_sdwa v91, v91, v71 dst_sel:DWORD dst_unused:UNUSED_PAD src0_sel:DWORD src1_sel:WORD_1
	v_fmac_f16_e32 v89, v98, v70
	v_lshrrev_b32_e32 v98, 16, v66
	s_waitcnt vmcnt(3)
	v_mul_f16_sdwa v102, v53, v72 dst_sel:DWORD dst_unused:UNUSED_PAD src0_sel:DWORD src1_sel:WORD_1
	v_fmac_f16_e32 v91, v100, v71
	v_mul_f16_sdwa v100, v66, v73 dst_sel:DWORD dst_unused:UNUSED_PAD src0_sel:DWORD src1_sel:WORD_1
	ds_read2_b32 v[70:71], v15 offset0:54 offset1:189
	v_mul_f16_sdwa v105, v98, v73 dst_sel:DWORD dst_unused:UNUSED_PAD src0_sel:DWORD src1_sel:WORD_1
	v_fmac_f16_e32 v102, v55, v72
	v_mul_f16_sdwa v55, v55, v72 dst_sel:DWORD dst_unused:UNUSED_PAD src0_sel:DWORD src1_sel:WORD_1
	v_fmac_f16_e32 v100, v98, v73
	v_mul_f16_sdwa v98, v103, v74 dst_sel:DWORD dst_unused:UNUSED_PAD src0_sel:DWORD src1_sel:WORD_1
	v_fma_f16 v73, v66, v73, -v105
	v_mul_f16_sdwa v105, v67, v75 dst_sel:DWORD dst_unused:UNUSED_PAD src0_sel:DWORD src1_sel:WORD_1
	v_fma_f16 v106, v53, v72, -v55
	;; [unrolled: 2-line block ×3, first 2 shown]
	s_waitcnt lgkmcnt(1)
	v_lshrrev_b32_e32 v55, 16, v68
	v_mul_f16_sdwa v74, v68, v76 dst_sel:DWORD dst_unused:UNUSED_PAD src0_sel:DWORD src1_sel:WORD_1
	v_fmac_f16_e32 v105, v104, v75
	v_fma_f16 v108, v67, v75, -v53
	ds_read2_b32 v[53:54], v36 offset0:62 offset1:197
	ds_read2_b32 v[66:67], v41 offset0:68 offset1:203
	v_fmac_f16_e32 v74, v55, v76
	v_mul_f16_sdwa v55, v55, v76 dst_sel:DWORD dst_unused:UNUSED_PAD src0_sel:DWORD src1_sel:WORD_1
	v_lshrrev_b32_e32 v103, 16, v69
	s_waitcnt lgkmcnt(2)
	v_lshrrev_b32_e32 v72, 16, v70
	v_mul_f16_sdwa v75, v70, v77 dst_sel:DWORD dst_unused:UNUSED_PAD src0_sel:DWORD src1_sel:WORD_1
	v_lshrrev_b32_e32 v104, 16, v71
	v_fma_f16 v76, v68, v76, -v55
	s_waitcnt vmcnt(2)
	v_mul_f16_sdwa v110, v103, v78 dst_sel:DWORD dst_unused:UNUSED_PAD src0_sel:DWORD src1_sel:WORD_1
	v_mul_f16_sdwa v109, v72, v77 dst_sel:DWORD dst_unused:UNUSED_PAD src0_sel:DWORD src1_sel:WORD_1
	v_fmac_f16_e32 v75, v72, v77
	v_mul_f16_sdwa v72, v104, v79 dst_sel:DWORD dst_unused:UNUSED_PAD src0_sel:DWORD src1_sel:WORD_1
	v_mul_f16_sdwa v112, v71, v79 dst_sel:DWORD dst_unused:UNUSED_PAD src0_sel:DWORD src1_sel:WORD_1
	v_add_f16_e32 v31, v102, v100
	v_fma_f16 v77, v70, v77, -v109
	v_fma_f16 v109, v69, v78, -v110
	v_fma_f16 v111, v71, v79, -v72
	v_mul_f16_sdwa v110, v69, v78 dst_sel:DWORD dst_unused:UNUSED_PAD src0_sel:DWORD src1_sel:WORD_1
	v_fmac_f16_e32 v112, v104, v79
	s_waitcnt lgkmcnt(1)
	v_lshrrev_b32_e32 v55, 16, v53
	s_waitcnt vmcnt(1)
	v_mul_f16_sdwa v70, v53, v80 dst_sel:DWORD dst_unused:UNUSED_PAD src0_sel:DWORD src1_sel:WORD_1
	s_waitcnt lgkmcnt(0)
	v_lshrrev_b32_e32 v68, 16, v66
	v_mul_f16_sdwa v71, v66, v81 dst_sel:DWORD dst_unused:UNUSED_PAD src0_sel:DWORD src1_sel:WORD_1
	v_fmac_f16_e32 v110, v103, v78
	v_lshrrev_b32_e32 v78, 16, v54
	v_fmac_f16_e32 v70, v55, v80
	v_mul_f16_sdwa v55, v55, v80 dst_sel:DWORD dst_unused:UNUSED_PAD src0_sel:DWORD src1_sel:WORD_1
	v_fmac_f16_e32 v71, v68, v81
	v_mul_f16_sdwa v103, v68, v81 dst_sel:DWORD dst_unused:UNUSED_PAD src0_sel:DWORD src1_sel:WORD_1
	s_waitcnt vmcnt(0)
	v_mul_f16_sdwa v68, v54, v82 dst_sel:DWORD dst_unused:UNUSED_PAD src0_sel:DWORD src1_sel:WORD_1
	v_lshrrev_b32_e32 v79, 16, v67
	v_fma_f16 v72, v53, v80, -v55
	ds_read_b32 v80, v34
	v_mul_f16_sdwa v53, v78, v82 dst_sel:DWORD dst_unused:UNUSED_PAD src0_sel:DWORD src1_sel:WORD_1
	v_fmac_f16_e32 v68, v78, v82
	v_add_f16_e32 v78, v84, v86
	v_mul_f16_sdwa v55, v79, v83 dst_sel:DWORD dst_unused:UNUSED_PAD src0_sel:DWORD src1_sel:WORD_1
	v_mul_f16_sdwa v69, v67, v83 dst_sel:DWORD dst_unused:UNUSED_PAD src0_sel:DWORD src1_sel:WORD_1
	v_fma_f16 v81, v66, v81, -v103
	v_fma_f16 v66, v54, v82, -v53
	v_lshl_add_u32 v54, v19, 2, 0
	v_fma_f16 v67, v67, v83, -v55
	v_lshl_add_u32 v55, v20, 2, 0
	v_lshl_add_u32 v53, v18, 2, 0
	v_fmac_f16_e32 v69, v79, v83
	ds_read_b32 v79, v47
	ds_read_b32 v82, v55
	;; [unrolled: 1-line block ×6, first 2 shown]
	s_waitcnt lgkmcnt(6)
	v_lshrrev_b32_e32 v114, 16, v80
	v_add_f16_e32 v115, v80, v84
	v_fmac_f16_e32 v80, -0.5, v78
	v_sub_f16_e32 v84, v84, v86
	v_add_f16_e32 v78, v114, v92
	v_sub_f16_e32 v92, v92, v95
	v_fmac_f16_e32 v114, -0.5, v116
	v_add_f16_e32 v86, v115, v86
	v_add_f16_e32 v78, v78, v95
	v_mov_b32_e32 v95, 0x258
	v_fmamk_f16 v115, v84, 0xbaee, v114
	v_fmac_f16_e32 v114, 0x3aee, v84
	v_pack_b32_f16 v78, v86, v78
	v_mul_u32_u24_sdwa v1, v1, v95 dst_sel:DWORD dst_unused:UNUSED_PAD src0_sel:WORD_0 src1_sel:DWORD
	ds_read_b32 v95, v50
	v_add3_u32 v1, 0, v1, v29
	v_fmamk_f16 v29, v92, 0x3aee, v80
	v_fmac_f16_e32 v80, 0xbaee, v92
	v_add_f16_e32 v92, v85, v96
	v_pack_b32_f16 v29, v29, v115
	ds_read_b32 v115, v51
	ds_read_b32 v86, v48
	s_waitcnt lgkmcnt(0)
	s_barrier
	buffer_gl0_inv
	ds_write2_b32 v1, v78, v29 offset1:50
	v_add_f16_e32 v29, v93, v87
	v_pack_b32_f16 v78, v80, v114
	v_lshrrev_b32_e32 v84, 16, v95
	v_add_f16_e32 v114, v95, v93
	v_fmac_f16_e32 v95, -0.5, v29
	v_sub_f16_e32 v29, v85, v96
	ds_write_b32 v1, v78 offset:400
	v_add_f16_e32 v80, v84, v85
	v_fmac_f16_e32 v84, -0.5, v92
	v_sub_f16_e32 v85, v93, v87
	v_add_f16_e32 v87, v114, v87
	v_fmamk_f16 v92, v29, 0x3aee, v95
	v_add_f16_e32 v80, v80, v96
	v_add3_u32 v1, 0, v7, v9
	v_fmamk_f16 v93, v85, 0xbaee, v84
	v_lshrrev_b32_e32 v9, 16, v115
	v_fmac_f16_e32 v95, 0xbaee, v29
	v_add_f16_e32 v29, v88, v90
	v_fmac_f16_e32 v84, 0x3aee, v85
	v_add_f16_e32 v85, v97, v99
	v_pack_b32_f16 v7, v87, v80
	v_add_f16_e32 v80, v9, v97
	v_add_f16_e32 v87, v115, v88
	v_fmac_f16_e32 v115, -0.5, v29
	v_sub_f16_e32 v29, v97, v99
	v_fmac_f16_e32 v9, -0.5, v85
	v_sub_f16_e32 v85, v88, v90
	v_pack_b32_f16 v78, v92, v93
	v_add_f16_e32 v80, v80, v99
	v_add_f16_e32 v87, v87, v90
	v_fmamk_f16 v88, v29, 0x3aee, v115
	v_fmamk_f16 v90, v85, 0xbaee, v9
	ds_write2_b32 v1, v7, v78 offset1:50
	v_pack_b32_f16 v7, v95, v84
	v_pack_b32_f16 v6, v87, v80
	v_fmac_f16_e32 v115, 0xbaee, v29
	v_pack_b32_f16 v78, v88, v90
	v_fmac_f16_e32 v9, 0x3aee, v85
	v_lshrrev_b32_e32 v29, 16, v113
	ds_write_b32 v1, v7 offset:400
	ds_write2_b32 v2, v6, v78 offset1:50
	v_add_f16_e32 v1, v101, v94
	v_pack_b32_f16 v6, v115, v9
	v_add_f16_e32 v9, v89, v91
	v_add_f16_e32 v7, v29, v89
	v_add_f16_e32 v78, v113, v101
	v_fmac_f16_e32 v113, -0.5, v1
	v_sub_f16_e32 v1, v89, v91
	v_fmac_f16_e32 v29, -0.5, v9
	v_sub_f16_e32 v9, v101, v94
	v_add_f16_e32 v7, v7, v91
	v_add_f16_e32 v78, v78, v94
	v_fmamk_f16 v80, v1, 0x3aee, v113
	ds_write_b32 v2, v6 offset:400
	v_lshrrev_b32_e32 v6, 16, v86
	v_fmac_f16_e32 v113, 0xbaee, v1
	v_add_f16_e32 v1, v106, v73
	v_fmamk_f16 v84, v9, 0xbaee, v29
	v_pack_b32_f16 v2, v78, v7
	v_fmac_f16_e32 v29, 0x3aee, v9
	v_add_f16_e32 v9, v6, v102
	v_add_f16_e32 v78, v86, v106
	v_fmac_f16_e32 v86, -0.5, v1
	v_sub_f16_e32 v1, v102, v100
	v_fmac_f16_e32 v6, -0.5, v31
	v_sub_f16_e32 v31, v106, v73
	v_pack_b32_f16 v7, v80, v84
	v_add_f16_e32 v9, v9, v100
	v_add_f16_e32 v73, v78, v73
	v_fmamk_f16 v78, v1, 0x3aee, v86
	v_fmamk_f16 v80, v31, 0xbaee, v6
	ds_write2_b32 v0, v2, v7 offset1:50
	v_pack_b32_f16 v2, v113, v29
	v_fmac_f16_e32 v86, 0xbaee, v1
	v_fmac_f16_e32 v6, 0x3aee, v31
	v_lshrrev_b32_e32 v1, 16, v79
	v_pack_b32_f16 v7, v73, v9
	v_pack_b32_f16 v9, v78, v80
	ds_write_b32 v0, v2 offset:400
	ds_write2_b32 v3, v7, v9 offset1:50
	v_add_f16_e32 v0, v98, v108
	v_pack_b32_f16 v2, v86, v6
	v_add_f16_e32 v6, v1, v107
	v_add_f16_e32 v9, v79, v98
	;; [unrolled: 1-line block ×3, first 2 shown]
	v_fmac_f16_e32 v79, -0.5, v0
	v_sub_f16_e32 v0, v107, v105
	v_add_f16_e32 v6, v6, v105
	v_mul_u32_u24_e32 v29, 0x258, v32
	v_add_f16_e32 v9, v9, v108
	v_fmac_f16_e32 v1, -0.5, v7
	v_sub_f16_e32 v7, v98, v108
	v_fmamk_f16 v31, v0, 0x3aee, v79
	ds_write_b32 v3, v2 offset:400
	v_add3_u32 v2, 0, v29, v30
	v_pack_b32_f16 v3, v9, v6
	v_lshrrev_b32_e32 v6, 16, v104
	v_fmac_f16_e32 v79, 0xbaee, v0
	v_add_f16_e32 v0, v76, v77
	v_add_f16_e32 v29, v74, v75
	v_fmamk_f16 v32, v7, 0xbaee, v1
	v_fmac_f16_e32 v1, 0x3aee, v7
	v_add_f16_e32 v7, v6, v74
	v_add_f16_e32 v30, v104, v76
	v_fmac_f16_e32 v104, -0.5, v0
	v_sub_f16_e32 v0, v74, v75
	v_fmac_f16_e32 v6, -0.5, v29
	v_sub_f16_e32 v29, v76, v77
	v_pack_b32_f16 v9, v31, v32
	v_add_f16_e32 v7, v7, v75
	v_add_f16_e32 v30, v30, v77
	v_mul_u32_u24_e32 v31, 0x258, v33
	v_lshlrev_b32_sdwa v32, v56, v65 dst_sel:DWORD dst_unused:UNUSED_PAD src0_sel:DWORD src1_sel:WORD_0
	v_fmamk_f16 v33, v0, 0x3aee, v104
	v_fmamk_f16 v62, v29, 0xbaee, v6
	v_pack_b32_f16 v1, v79, v1
	v_fmac_f16_e32 v104, 0xbaee, v0
	v_fmac_f16_e32 v6, 0x3aee, v29
	v_lshrrev_b32_e32 v0, 16, v82
	ds_write2_b32 v2, v3, v9 offset1:50
	v_add3_u32 v3, 0, v31, v32
	v_pack_b32_f16 v7, v30, v7
	v_pack_b32_f16 v9, v33, v62
	ds_write_b32 v2, v1 offset:400
	ds_write2_b32 v3, v7, v9 offset1:50
	v_add_f16_e32 v1, v109, v111
	v_pack_b32_f16 v2, v104, v6
	v_add_f16_e32 v6, v0, v110
	v_add_f16_e32 v7, v110, v112
	;; [unrolled: 1-line block ×3, first 2 shown]
	v_fmac_f16_e32 v82, -0.5, v1
	v_sub_f16_e32 v1, v110, v112
	v_add_f16_e32 v6, v6, v112
	v_fmac_f16_e32 v0, -0.5, v7
	v_sub_f16_e32 v7, v109, v111
	v_mul_u32_u24_e32 v29, 0x258, v58
	v_lshlrev_b32_sdwa v30, v56, v64 dst_sel:DWORD dst_unused:UNUSED_PAD src0_sel:DWORD src1_sel:WORD_0
	v_add_f16_e32 v9, v9, v111
	v_fmamk_f16 v31, v1, 0x3aee, v82
	v_fmamk_f16 v32, v7, 0xbaee, v0
	ds_write_b32 v3, v2 offset:400
	v_add3_u32 v2, 0, v29, v30
	v_pack_b32_f16 v3, v9, v6
	v_lshrrev_b32_e32 v6, 16, v83
	v_fmac_f16_e32 v82, 0xbaee, v1
	v_add_f16_e32 v1, v72, v81
	v_fmac_f16_e32 v0, 0x3aee, v7
	v_add_f16_e32 v29, v70, v71
	v_add_f16_e32 v7, v6, v70
	;; [unrolled: 1-line block ×3, first 2 shown]
	v_fmac_f16_e32 v83, -0.5, v1
	v_sub_f16_e32 v1, v70, v71
	v_fmac_f16_e32 v6, -0.5, v29
	v_sub_f16_e32 v29, v72, v81
	v_pack_b32_f16 v0, v82, v0
	v_pack_b32_f16 v9, v31, v32
	v_add_f16_e32 v7, v7, v71
	v_add_f16_e32 v30, v30, v81
	v_mul_u32_u24_e32 v31, 0x258, v61
	v_lshlrev_b32_sdwa v32, v56, v63 dst_sel:DWORD dst_unused:UNUSED_PAD src0_sel:DWORD src1_sel:WORD_0
	v_fmamk_f16 v33, v1, 0x3aee, v83
	v_fmamk_f16 v58, v29, 0xbaee, v6
	v_fmac_f16_e32 v83, 0xbaee, v1
	v_fmac_f16_e32 v6, 0x3aee, v29
	v_lshrrev_b32_e32 v29, 16, v103
	ds_write_b32 v2, v0 offset:400
	v_add_f16_e32 v0, v66, v67
	ds_write2_b32 v2, v3, v9 offset1:50
	v_add3_u32 v3, 0, v31, v32
	v_pack_b32_f16 v7, v30, v7
	v_pack_b32_f16 v9, v33, v58
	;; [unrolled: 1-line block ×3, first 2 shown]
	v_add_f16_e32 v2, v29, v68
	v_add_f16_e32 v6, v103, v66
	v_fmac_f16_e32 v103, -0.5, v0
	v_add_f16_e32 v0, v68, v69
	ds_write2_b32 v3, v7, v9 offset1:50
	v_sub_f16_e32 v7, v68, v69
	v_add_f16_e32 v2, v2, v69
	v_add_f16_e32 v6, v6, v67
	v_fmac_f16_e32 v29, -0.5, v0
	v_sub_f16_e32 v0, v66, v67
	v_mul_u32_u24_e32 v9, 0x258, v59
	v_lshlrev_b32_sdwa v30, v56, v60 dst_sel:DWORD dst_unused:UNUSED_PAD src0_sel:DWORD src1_sel:WORD_0
	ds_write_b32 v3, v1 offset:400
	v_fmamk_f16 v1, v7, 0x3aee, v103
	v_fmamk_f16 v3, v0, 0xbaee, v29
	v_pack_b32_f16 v2, v6, v2
	v_fmac_f16_e32 v103, 0xbaee, v7
	v_fmac_f16_e32 v29, 0x3aee, v0
	v_add_nc_u32_e32 v6, -15, v12
	v_add3_u32 v9, 0, v9, v30
	v_pack_b32_f16 v3, v1, v3
	v_lshlrev_b32_e32 v0, 1, v12
	v_mov_b32_e32 v1, 0
	v_pack_b32_f16 v7, v103, v29
	v_cndmask_b32_e64 v29, v6, v14, s0
	v_mov_b32_e32 v62, 0xda75
	ds_write2_b32 v9, v2, v3 offset1:50
	v_lshlrev_b64 v[2:3], 2, v[0:1]
	v_mov_b32_e32 v33, v1
	v_lshlrev_b32_e32 v32, 1, v29
	v_mul_u32_u24_sdwa v5, v5, v62 dst_sel:DWORD dst_unused:UNUSED_PAD src0_sel:WORD_0 src1_sel:DWORD
	ds_write_b32 v9, v7 offset:400
	s_waitcnt lgkmcnt(0)
	v_add_co_u32 v2, s0, s8, v2
	v_lshlrev_b64 v[32:33], 2, v[32:33]
	v_add_co_ci_u32_e64 v3, s0, s9, v3, s0
	v_lshrrev_b32_e32 v31, 22, v5
	s_barrier
	buffer_gl0_inv
	v_add_co_u32 v58, s0, s8, v32
	global_load_dwordx2 v[6:7], v[2:3], off offset:560
	v_mul_lo_u16 v5, 0x96, v31
	v_add_co_ci_u32_e64 v59, s0, s9, v33, s0
	v_mul_u32_u24_sdwa v9, v4, v62 dst_sel:DWORD dst_unused:UNUSED_PAD src0_sel:WORD_0 src1_sel:DWORD
	v_mul_u32_u24_sdwa v10, v10, v62 dst_sel:DWORD dst_unused:UNUSED_PAD src0_sel:WORD_0 src1_sel:DWORD
	v_sub_nc_u16 v32, v25, v5
	global_load_dwordx2 v[4:5], v[58:59], off offset:560
	v_mul_u32_u24_sdwa v58, v8, v62 dst_sel:DWORD dst_unused:UNUSED_PAD src0_sel:WORD_0 src1_sel:DWORD
	v_lshrrev_b32_e32 v30, 22, v9
	v_mul_u32_u24_sdwa v27, v27, v62 dst_sel:DWORD dst_unused:UNUSED_PAD src0_sel:WORD_0 src1_sel:DWORD
	v_mul_u32_u24_sdwa v26, v26, v62 dst_sel:DWORD dst_unused:UNUSED_PAD src0_sel:WORD_0 src1_sel:DWORD
	;; [unrolled: 1-line block ×4, first 2 shown]
	v_mul_lo_u16 v33, 0x96, v30
	v_lshlrev_b32_sdwa v9, v57, v32 dst_sel:DWORD dst_unused:UNUSED_PAD src0_sel:DWORD src1_sel:WORD_0
	v_lshrrev_b32_e32 v26, 22, v26
	v_lshrrev_b32_e32 v28, 22, v11
	;; [unrolled: 1-line block ×3, first 2 shown]
	v_sub_nc_u16 v59, v24, v33
	v_lshrrev_b32_e32 v33, 22, v58
	global_load_dwordx2 v[8:9], v9, s[8:9] offset:560
	v_mul_lo_u16 v72, 0x96, v26
	v_mul_lo_u16 v11, 0x96, v11
	v_lshlrev_b32_sdwa v58, v57, v59 dst_sel:DWORD dst_unused:UNUSED_PAD src0_sel:DWORD src1_sel:WORD_0
	v_mul_lo_u16 v60, 0x96, v33
	v_mul_lo_u16 v74, 0x96, v28
	v_cmp_lt_u32_e64 s0, 14, v12
	v_sub_nc_u16 v11, v18, v11
	global_load_dwordx2 v[64:65], v58, s[8:9] offset:560
	v_sub_nc_u16 v60, v23, v60
	v_lshrrev_b32_e32 v58, 22, v10
	v_lshlrev_b32_e32 v29, 2, v29
	v_and_b32_e32 v11, 0xffff, v11
	v_mul_u32_u24_e32 v31, 0x708, v31
	v_lshlrev_b32_sdwa v10, v57, v60 dst_sel:DWORD dst_unused:UNUSED_PAD src0_sel:DWORD src1_sel:WORD_0
	v_mul_lo_u16 v61, 0x96, v58
	v_lshlrev_b32_sdwa v32, v56, v32 dst_sel:DWORD dst_unused:UNUSED_PAD src0_sel:DWORD src1_sel:WORD_0
	v_lshlrev_b32_e32 v76, 3, v11
	v_mul_u32_u24_e32 v30, 0x708, v30
	global_load_dwordx2 v[66:67], v10, s[8:9] offset:560
	v_lshlrev_b32_sdwa v59, v56, v59 dst_sel:DWORD dst_unused:UNUSED_PAD src0_sel:DWORD src1_sel:WORD_0
	v_add3_u32 v31, 0, v31, v32
	global_load_dwordx2 v[76:77], v76, s[8:9] offset:560
	v_lshrrev_b32_e32 v10, 22, v27
	v_sub_nc_u16 v27, v22, v61
	v_add3_u32 v30, 0, v30, v59
	v_mul_u32_u24_e32 v33, 0x708, v33
	v_lshlrev_b32_sdwa v60, v56, v60 dst_sel:DWORD dst_unused:UNUSED_PAD src0_sel:DWORD src1_sel:WORD_0
	v_mul_lo_u16 v61, 0x96, v10
	v_lshlrev_b32_sdwa v63, v57, v27 dst_sel:DWORD dst_unused:UNUSED_PAD src0_sel:DWORD src1_sel:WORD_0
	v_mul_u32_u24_e32 v58, 0x708, v58
	v_lshlrev_b32_sdwa v27, v56, v27 dst_sel:DWORD dst_unused:UNUSED_PAD src0_sel:DWORD src1_sel:WORD_0
	v_add3_u32 v33, 0, v33, v60
	v_sub_nc_u16 v61, v21, v61
	global_load_dwordx2 v[68:69], v63, s[8:9] offset:560
	v_mul_u32_u24_e32 v10, 0x708, v10
	v_add3_u32 v27, 0, v58, v27
	v_mul_u32_u24_e32 v26, 0x708, v26
	v_lshlrev_b32_sdwa v63, v57, v61 dst_sel:DWORD dst_unused:UNUSED_PAD src0_sel:DWORD src1_sel:WORD_0
	v_mul_u32_u24_e32 v28, 0x708, v28
	global_load_dwordx2 v[70:71], v63, s[8:9] offset:560
	v_sub_nc_u16 v63, v20, v72
	v_lshlrev_b32_sdwa v62, v57, v63 dst_sel:DWORD dst_unused:UNUSED_PAD src0_sel:DWORD src1_sel:WORD_0
	global_load_dwordx2 v[72:73], v62, s[8:9] offset:560
	v_sub_nc_u16 v62, v19, v74
	v_lshlrev_b32_sdwa v74, v57, v62 dst_sel:DWORD dst_unused:UNUSED_PAD src0_sel:DWORD src1_sel:WORD_0
	global_load_dwordx2 v[74:75], v74, s[8:9] offset:560
	ds_read2_b32 v[78:79], v46 offset0:70 offset1:205
	ds_read2_b32 v[80:81], v38 offset0:12 offset1:147
	ds_read_u16 v86, v34 offset:5942
	ds_read2_b32 v[82:83], v40 offset0:84 offset1:219
	ds_read2_b32 v[84:85], v45 offset0:26 offset1:161
	ds_read_b32 v92, v47
	ds_read_b32 v93, v55
	;; [unrolled: 1-line block ×8, first 2 shown]
	s_waitcnt lgkmcnt(12)
	v_lshrrev_b32_e32 v87, 16, v78
	s_waitcnt lgkmcnt(11)
	v_lshrrev_b32_e32 v89, 16, v80
	v_lshrrev_b32_e32 v100, 16, v81
	s_waitcnt lgkmcnt(4)
	v_lshrrev_b32_e32 v58, 16, v95
	v_lshrrev_b32_e32 v102, 16, v85
	s_waitcnt vmcnt(9)
	v_mul_f16_sdwa v88, v6, v78 dst_sel:DWORD dst_unused:UNUSED_PAD src0_sel:WORD_1 src1_sel:DWORD
	v_mul_f16_sdwa v90, v7, v80 dst_sel:DWORD dst_unused:UNUSED_PAD src0_sel:WORD_1 src1_sel:DWORD
	;; [unrolled: 1-line block ×3, first 2 shown]
	v_fmac_f16_e32 v88, v6, v87
	v_mul_f16_sdwa v87, v6, v87 dst_sel:DWORD dst_unused:UNUSED_PAD src0_sel:WORD_1 src1_sel:DWORD
	s_waitcnt vmcnt(8)
	v_mul_f16_sdwa v99, v86, v4 dst_sel:DWORD dst_unused:UNUSED_PAD src0_sel:DWORD src1_sel:WORD_1
	v_fmac_f16_e32 v90, v7, v89
	v_fma_f16 v80, v7, v80, -v91
	v_mul_f16_sdwa v89, v81, v5 dst_sel:DWORD dst_unused:UNUSED_PAD src0_sel:DWORD src1_sel:WORD_1
	v_fma_f16 v78, v6, v78, -v87
	v_mul_f16_sdwa v6, v100, v5 dst_sel:DWORD dst_unused:UNUSED_PAD src0_sel:DWORD src1_sel:WORD_1
	v_fma_f16 v87, v4, v79, -v99
	v_mul_f16_sdwa v79, v4, v79 dst_sel:DWORD dst_unused:UNUSED_PAD src0_sel:WORD_1 src1_sel:DWORD
	v_lshrrev_b32_e32 v91, 16, v82
	v_fmac_f16_e32 v89, v100, v5
	v_fma_f16 v81, v81, v5, -v6
	ds_read2_b32 v[6:7], v35 offset0:98 offset1:233
	v_fmac_f16_e32 v79, v86, v4
	ds_read2_b32 v[4:5], v37 offset0:40 offset1:175
	s_waitcnt vmcnt(7)
	v_mul_f16_sdwa v99, v82, v8 dst_sel:DWORD dst_unused:UNUSED_PAD src0_sel:DWORD src1_sel:WORD_1
	v_lshrrev_b32_e32 v86, 16, v84
	v_lshrrev_b32_e32 v100, 16, v83
	v_mul_f16_sdwa v101, v84, v9 dst_sel:DWORD dst_unused:UNUSED_PAD src0_sel:DWORD src1_sel:WORD_1
	v_add_f16_e32 v112, v88, v90
	v_fmac_f16_e32 v99, v91, v8
	v_mul_f16_sdwa v91, v91, v8 dst_sel:DWORD dst_unused:UNUSED_PAD src0_sel:DWORD src1_sel:WORD_1
	v_mul_f16_sdwa v103, v86, v9 dst_sel:DWORD dst_unused:UNUSED_PAD src0_sel:DWORD src1_sel:WORD_1
	s_waitcnt vmcnt(6)
	v_mul_f16_sdwa v104, v100, v64 dst_sel:DWORD dst_unused:UNUSED_PAD src0_sel:DWORD src1_sel:WORD_1
	v_fmac_f16_e32 v101, v86, v9
	v_fma_f16 v82, v82, v8, -v91
	v_mul_f16_sdwa v8, v102, v65 dst_sel:DWORD dst_unused:UNUSED_PAD src0_sel:DWORD src1_sel:WORD_1
	v_fma_f16 v84, v84, v9, -v103
	v_fma_f16 v86, v83, v64, -v104
	v_mul_f16_sdwa v83, v83, v64 dst_sel:DWORD dst_unused:UNUSED_PAD src0_sel:DWORD src1_sel:WORD_1
	v_mul_f16_sdwa v91, v85, v65 dst_sel:DWORD dst_unused:UNUSED_PAD src0_sel:DWORD src1_sel:WORD_1
	v_fma_f16 v85, v85, v65, -v8
	s_waitcnt lgkmcnt(1)
	v_lshrrev_b32_e32 v103, 16, v6
	s_waitcnt vmcnt(5)
	v_mul_f16_sdwa v104, v6, v66 dst_sel:DWORD dst_unused:UNUSED_PAD src0_sel:DWORD src1_sel:WORD_1
	ds_read2_b32 v[8:9], v42 offset0:112 offset1:247
	v_fmac_f16_e32 v83, v100, v64
	v_fmac_f16_e32 v91, v102, v65
	s_waitcnt lgkmcnt(1)
	v_lshrrev_b32_e32 v100, 16, v4
	v_fmac_f16_e32 v104, v103, v66
	ds_read2_b32 v[64:65], v15 offset0:54 offset1:189
	v_mul_f16_sdwa v102, v4, v67 dst_sel:DWORD dst_unused:UNUSED_PAD src0_sel:DWORD src1_sel:WORD_1
	v_lshrrev_b32_e32 v105, 16, v7
	v_mul_f16_sdwa v103, v103, v66 dst_sel:DWORD dst_unused:UNUSED_PAD src0_sel:DWORD src1_sel:WORD_1
	v_lshrrev_b32_e32 v106, 16, v5
	v_mul_f16_sdwa v107, v100, v67 dst_sel:DWORD dst_unused:UNUSED_PAD src0_sel:DWORD src1_sel:WORD_1
	v_fmac_f16_e32 v102, v100, v67
	v_fma_f16 v66, v6, v66, -v103
	s_waitcnt vmcnt(3)
	v_mul_f16_sdwa v100, v105, v68 dst_sel:DWORD dst_unused:UNUSED_PAD src0_sel:DWORD src1_sel:WORD_1
	v_mul_f16_sdwa v6, v106, v69 dst_sel:DWORD dst_unused:UNUSED_PAD src0_sel:DWORD src1_sel:WORD_1
	;; [unrolled: 1-line block ×3, first 2 shown]
	v_fma_f16 v67, v4, v67, -v107
	v_mul_f16_sdwa v107, v5, v69 dst_sel:DWORD dst_unused:UNUSED_PAD src0_sel:DWORD src1_sel:WORD_1
	v_fma_f16 v100, v7, v68, -v100
	v_fma_f16 v108, v5, v69, -v6
	ds_read2_b32 v[6:7], v41 offset0:68 offset1:203
	v_fmac_f16_e32 v103, v105, v68
	s_waitcnt lgkmcnt(2)
	v_lshrrev_b32_e32 v68, 16, v8
	s_waitcnt vmcnt(2)
	v_mul_f16_sdwa v105, v8, v70 dst_sel:DWORD dst_unused:UNUSED_PAD src0_sel:DWORD src1_sel:WORD_1
	ds_read2_b32 v[4:5], v36 offset0:62 offset1:197
	v_fmac_f16_e32 v107, v106, v69
	s_waitcnt lgkmcnt(2)
	v_lshrrev_b32_e32 v69, 16, v64
	v_mul_f16_sdwa v106, v64, v71 dst_sel:DWORD dst_unused:UNUSED_PAD src0_sel:DWORD src1_sel:WORD_1
	v_fmac_f16_e32 v105, v68, v70
	v_lshrrev_b32_e32 v109, 16, v9
	v_mul_f16_sdwa v68, v68, v70 dst_sel:DWORD dst_unused:UNUSED_PAD src0_sel:DWORD src1_sel:WORD_1
	v_lshrrev_b32_e32 v110, 16, v65
	v_fmac_f16_e32 v106, v69, v71
	v_mul_f16_sdwa v69, v69, v71 dst_sel:DWORD dst_unused:UNUSED_PAD src0_sel:DWORD src1_sel:WORD_1
	s_waitcnt vmcnt(1)
	v_mul_f16_sdwa v111, v109, v72 dst_sel:DWORD dst_unused:UNUSED_PAD src0_sel:DWORD src1_sel:WORD_1
	v_fma_f16 v8, v8, v70, -v68
	v_mul_f16_sdwa v70, v9, v72 dst_sel:DWORD dst_unused:UNUSED_PAD src0_sel:DWORD src1_sel:WORD_1
	v_mul_f16_sdwa v68, v110, v73 dst_sel:DWORD dst_unused:UNUSED_PAD src0_sel:DWORD src1_sel:WORD_1
	v_fma_f16 v64, v64, v71, -v69
	v_fma_f16 v9, v9, v72, -v111
	v_mul_f16_sdwa v69, v65, v73 dst_sel:DWORD dst_unused:UNUSED_PAD src0_sel:DWORD src1_sel:WORD_1
	v_fmac_f16_e32 v70, v109, v72
	s_waitcnt lgkmcnt(1)
	v_lshrrev_b32_e32 v72, 16, v6
	v_fma_f16 v65, v65, v73, -v68
	s_waitcnt lgkmcnt(0)
	v_lshrrev_b32_e32 v68, 16, v4
	s_waitcnt vmcnt(0)
	v_mul_f16_sdwa v71, v4, v74 dst_sel:DWORD dst_unused:UNUSED_PAD src0_sel:DWORD src1_sel:WORD_1
	v_fmac_f16_e32 v69, v110, v73
	v_lshrrev_b32_e32 v73, 16, v5
	v_mul_f16_sdwa v109, v6, v75 dst_sel:DWORD dst_unused:UNUSED_PAD src0_sel:DWORD src1_sel:WORD_1
	v_mul_f16_sdwa v110, v72, v75 dst_sel:DWORD dst_unused:UNUSED_PAD src0_sel:DWORD src1_sel:WORD_1
	v_fmac_f16_e32 v71, v68, v74
	v_mul_f16_sdwa v68, v68, v74 dst_sel:DWORD dst_unused:UNUSED_PAD src0_sel:DWORD src1_sel:WORD_1
	v_mul_f16_sdwa v111, v73, v76 dst_sel:DWORD dst_unused:UNUSED_PAD src0_sel:DWORD src1_sel:WORD_1
	v_fmac_f16_e32 v109, v72, v75
	v_fma_f16 v6, v6, v75, -v110
	v_add_f16_e32 v75, v78, v80
	v_lshrrev_b32_e32 v110, 16, v98
	v_lshrrev_b32_e32 v72, 16, v7
	v_fma_f16 v4, v4, v74, -v68
	v_fma_f16 v68, v5, v76, -v111
	v_add_f16_e32 v111, v98, v78
	v_fmac_f16_e32 v98, -0.5, v75
	v_add_f16_e32 v75, v110, v88
	v_mul_f16_sdwa v74, v72, v77 dst_sel:DWORD dst_unused:UNUSED_PAD src0_sel:DWORD src1_sel:WORD_1
	v_fmac_f16_e32 v110, -0.5, v112
	v_sub_f16_e32 v78, v78, v80
	v_mul_f16_sdwa v112, v7, v77 dst_sel:DWORD dst_unused:UNUSED_PAD src0_sel:DWORD src1_sel:WORD_1
	v_add_f16_e32 v75, v75, v90
	v_add_f16_e32 v80, v111, v80
	v_mul_f16_sdwa v5, v5, v76 dst_sel:DWORD dst_unused:UNUSED_PAD src0_sel:DWORD src1_sel:WORD_1
	v_sub_f16_e32 v88, v88, v90
	v_fma_f16 v7, v7, v77, -v74
	v_fmac_f16_e32 v112, v72, v77
	v_pack_b32_f16 v72, v80, v75
	ds_read_b32 v74, v51
	ds_read_b32 v75, v53
	v_fmamk_f16 v90, v88, 0x3aee, v98
	v_fmamk_f16 v111, v78, 0xbaee, v110
	v_fmac_f16_e32 v5, v73, v76
	v_lshrrev_b32_e32 v76, 16, v113
	v_fmac_f16_e32 v98, 0xbaee, v88
	v_add_f16_e32 v77, v87, v81
	v_pack_b32_f16 v73, v90, v111
	v_fmac_f16_e32 v110, 0x3aee, v78
	v_add_f16_e32 v78, v76, v79
	v_add_f16_e32 v80, v79, v89
	;; [unrolled: 1-line block ×3, first 2 shown]
	s_waitcnt lgkmcnt(0)
	s_barrier
	buffer_gl0_inv
	v_fmac_f16_e32 v113, -0.5, v77
	v_sub_f16_e32 v77, v79, v89
	v_add_f16_e32 v78, v78, v89
	v_fmac_f16_e32 v76, -0.5, v80
	v_add_f16_e32 v79, v88, v81
	v_sub_f16_e32 v80, v87, v81
	ds_write2_b32 v34, v72, v73 offset1:150
	v_pack_b32_f16 v72, v98, v110
	v_cndmask_b32_e64 v81, 0, 0x708, s0
	v_pack_b32_f16 v73, v79, v78
	v_fmamk_f16 v88, v80, 0xbaee, v76
	v_lshrrev_b32_e32 v79, 16, v74
	ds_write_b32 v34, v72 offset:1200
	v_add_f16_e32 v72, v82, v84
	v_fmac_f16_e32 v76, 0x3aee, v80
	v_add_f16_e32 v80, v99, v101
	v_fmamk_f16 v87, v77, 0x3aee, v113
	v_add3_u32 v29, 0, v81, v29
	v_fmac_f16_e32 v113, 0xbaee, v77
	v_add_f16_e32 v77, v79, v99
	v_add_f16_e32 v81, v74, v82
	v_fmac_f16_e32 v74, -0.5, v72
	v_sub_f16_e32 v72, v99, v101
	v_fmac_f16_e32 v79, -0.5, v80
	v_sub_f16_e32 v80, v82, v84
	v_pack_b32_f16 v78, v87, v88
	v_add_f16_e32 v77, v77, v101
	v_add_f16_e32 v81, v81, v84
	v_fmamk_f16 v82, v72, 0x3aee, v74
	v_fmamk_f16 v84, v80, 0xbaee, v79
	ds_write2_b32 v29, v73, v78 offset1:150
	v_pack_b32_f16 v73, v113, v76
	v_fmac_f16_e32 v74, 0xbaee, v72
	v_fmac_f16_e32 v79, 0x3aee, v80
	v_pack_b32_f16 v32, v81, v77
	v_pack_b32_f16 v76, v82, v84
	v_lshrrev_b32_e32 v72, 16, v97
	ds_write_b32 v29, v73 offset:1200
	ds_write2_b32 v31, v32, v76 offset1:150
	v_add_f16_e32 v29, v86, v85
	v_pack_b32_f16 v32, v74, v79
	v_add_f16_e32 v74, v83, v91
	v_add_f16_e32 v73, v72, v83
	;; [unrolled: 1-line block ×3, first 2 shown]
	v_fmac_f16_e32 v97, -0.5, v29
	v_sub_f16_e32 v29, v83, v91
	v_fmac_f16_e32 v72, -0.5, v74
	v_sub_f16_e32 v74, v86, v85
	v_add_f16_e32 v73, v73, v91
	v_add_f16_e32 v76, v76, v85
	v_fmamk_f16 v77, v29, 0x3aee, v97
	ds_write_b32 v31, v32 offset:1200
	v_fmamk_f16 v78, v74, 0xbaee, v72
	v_lshrrev_b32_e32 v32, 16, v96
	v_fmac_f16_e32 v97, 0xbaee, v29
	v_add_f16_e32 v29, v66, v67
	v_fmac_f16_e32 v72, 0x3aee, v74
	v_add_f16_e32 v74, v104, v102
	v_pack_b32_f16 v31, v76, v73
	v_add_f16_e32 v73, v32, v104
	v_add_f16_e32 v76, v96, v66
	v_fmac_f16_e32 v96, -0.5, v29
	v_sub_f16_e32 v29, v104, v102
	v_fmac_f16_e32 v32, -0.5, v74
	v_sub_f16_e32 v66, v66, v67
	v_pack_b32_f16 v59, v77, v78
	v_add_f16_e32 v73, v73, v102
	v_add_f16_e32 v67, v76, v67
	v_fmamk_f16 v74, v29, 0x3aee, v96
	v_fmamk_f16 v76, v66, 0xbaee, v32
	ds_write2_b32 v30, v31, v59 offset1:150
	v_pack_b32_f16 v31, v97, v72
	v_pack_b32_f16 v59, v67, v73
	v_fmac_f16_e32 v96, 0xbaee, v29
	v_pack_b32_f16 v60, v74, v76
	v_fmac_f16_e32 v32, 0x3aee, v66
	v_lshrrev_b32_e32 v29, 16, v92
	ds_write_b32 v30, v31 offset:1200
	ds_write2_b32 v33, v59, v60 offset1:150
	v_add_f16_e32 v30, v100, v108
	v_add_f16_e32 v59, v103, v107
	v_pack_b32_f16 v31, v96, v32
	v_add_f16_e32 v32, v29, v103
	v_add_f16_e32 v60, v92, v100
	v_fmac_f16_e32 v92, -0.5, v30
	v_sub_f16_e32 v30, v103, v107
	v_fmac_f16_e32 v29, -0.5, v59
	v_sub_f16_e32 v59, v100, v108
	v_add_f16_e32 v32, v32, v107
	v_add_f16_e32 v60, v60, v108
	v_fmamk_f16 v66, v30, 0x3aee, v92
	v_fmac_f16_e32 v92, 0xbaee, v30
	v_fmamk_f16 v67, v59, 0xbaee, v29
	v_fmac_f16_e32 v29, 0x3aee, v59
	v_pack_b32_f16 v30, v60, v32
	ds_write_b32 v33, v31 offset:1200
	v_add_f16_e32 v31, v8, v64
	v_pack_b32_f16 v32, v66, v67
	v_pack_b32_f16 v29, v92, v29
	v_add_f16_e32 v33, v70, v69
	v_add_f16_e32 v59, v93, v9
	v_cmp_gt_u32_e64 s0, 45, v12
	ds_write2_b32 v27, v30, v32 offset1:150
	v_add_f16_e32 v30, v58, v105
	ds_write_b32 v27, v29 offset:1200
	v_add_f16_e32 v27, v95, v8
	v_fmac_f16_e32 v95, -0.5, v31
	v_add_f16_e32 v29, v105, v106
	v_add_f16_e32 v30, v30, v106
	v_sub_f16_e32 v32, v105, v106
	v_add_f16_e32 v27, v27, v64
	v_lshlrev_b32_sdwa v31, v56, v61 dst_sel:DWORD dst_unused:UNUSED_PAD src0_sel:DWORD src1_sel:WORD_0
	v_fmac_f16_e32 v58, -0.5, v29
	v_sub_f16_e32 v8, v8, v64
	v_fmamk_f16 v29, v32, 0x3aee, v95
	v_pack_b32_f16 v27, v27, v30
	v_lshrrev_b32_e32 v30, 16, v93
	v_fmac_f16_e32 v95, 0xbaee, v32
	v_add_f16_e32 v32, v9, v65
	v_add3_u32 v10, 0, v10, v31
	v_fmamk_f16 v31, v8, 0xbaee, v58
	v_fmac_f16_e32 v58, 0x3aee, v8
	v_add_f16_e32 v8, v30, v70
	v_fmac_f16_e32 v93, -0.5, v32
	v_sub_f16_e32 v32, v70, v69
	v_fmac_f16_e32 v30, -0.5, v33
	v_sub_f16_e32 v9, v9, v65
	v_add_f16_e32 v8, v8, v69
	v_add_f16_e32 v33, v59, v65
	v_lshlrev_b32_sdwa v59, v56, v63 dst_sel:DWORD dst_unused:UNUSED_PAD src0_sel:DWORD src1_sel:WORD_0
	v_fmamk_f16 v60, v32, 0x3aee, v93
	v_fmamk_f16 v61, v9, 0xbaee, v30
	v_pack_b32_f16 v29, v29, v31
	v_pack_b32_f16 v31, v95, v58
	v_add3_u32 v26, 0, v26, v59
	v_pack_b32_f16 v8, v33, v8
	v_pack_b32_f16 v33, v60, v61
	v_fmac_f16_e32 v93, 0xbaee, v32
	v_fmac_f16_e32 v30, 0x3aee, v9
	ds_write2_b32 v10, v27, v29 offset1:150
	ds_write_b32 v10, v31 offset:1200
	ds_write2_b32 v26, v8, v33 offset1:150
	v_add_f16_e32 v8, v4, v6
	v_lshrrev_b32_e32 v10, 16, v94
	v_add_f16_e32 v27, v71, v109
	v_pack_b32_f16 v9, v93, v30
	v_add_f16_e32 v29, v94, v4
	v_fmac_f16_e32 v94, -0.5, v8
	v_sub_f16_e32 v8, v71, v109
	v_add_f16_e32 v30, v10, v71
	v_fmac_f16_e32 v10, -0.5, v27
	v_sub_f16_e32 v4, v4, v6
	v_add_f16_e32 v6, v29, v6
	v_fmamk_f16 v27, v8, 0x3aee, v94
	v_fmac_f16_e32 v94, 0xbaee, v8
	v_add_f16_e32 v8, v30, v109
	v_fmamk_f16 v29, v4, 0xbaee, v10
	v_add_f16_e32 v30, v68, v7
	v_fmac_f16_e32 v10, 0x3aee, v4
	v_lshrrev_b32_e32 v4, 16, v75
	v_add_f16_e32 v31, v5, v112
	v_add_f16_e32 v32, v75, v68
	v_fmac_f16_e32 v75, -0.5, v30
	v_sub_f16_e32 v30, v5, v112
	v_add_f16_e32 v5, v4, v5
	v_fmac_f16_e32 v4, -0.5, v31
	v_add_f16_e32 v31, v32, v7
	v_sub_f16_e32 v7, v68, v7
	v_lshlrev_b32_sdwa v33, v56, v62 dst_sel:DWORD dst_unused:UNUSED_PAD src0_sel:DWORD src1_sel:WORD_0
	v_fmamk_f16 v32, v30, 0x3aee, v75
	v_fmac_f16_e32 v75, 0xbaee, v30
	v_add_f16_e32 v5, v5, v112
	v_fmamk_f16 v30, v7, 0xbaee, v4
	v_pack_b32_f16 v6, v6, v8
	v_lshl_add_u32 v8, v11, 2, 0
	v_fmac_f16_e32 v4, 0x3aee, v7
	v_add3_u32 v7, 0, v28, v33
	v_pack_b32_f16 v11, v27, v29
	v_pack_b32_f16 v10, v94, v10
	;; [unrolled: 1-line block ×4, first 2 shown]
	v_add_nc_u32_e32 v28, 0x3800, v8
	v_pack_b32_f16 v4, v75, v4
	ds_write_b32 v26, v9 offset:1200
	ds_write2_b32 v7, v6, v11 offset1:150
	ds_write_b32 v7, v10 offset:1200
	ds_write2_b32 v28, v5, v27 offset0:16 offset1:166
	ds_write_b32 v8, v4 offset:15600
	v_lshlrev_b32_e32 v4, 1, v14
	v_mov_b32_e32 v5, v1
	v_subrev_nc_u32_e32 v6, 45, v12
	v_lshlrev_b32_e32 v8, 1, v25
	v_mov_b32_e32 v9, v1
	s_waitcnt lgkmcnt(0)
	v_lshlrev_b64 v[4:5], 2, v[4:5]
	v_cndmask_b32_e64 v58, v6, v24, s0
	s_barrier
	buffer_gl0_inv
	global_load_dwordx2 v[10:11], v[2:3], off offset:1760
	v_add_nc_u32_e32 v30, 0xb4, v0
	v_add_co_u32 v6, s0, s8, v4
	v_add_co_ci_u32_e64 v7, s0, s9, v5, s0
	v_lshlrev_b64 v[4:5], 2, v[8:9]
	v_lshlrev_b32_e32 v8, 1, v58
	v_mov_b32_e32 v31, v1
	global_load_dwordx2 v[26:27], v[6:7], off offset:1760
	v_mov_b32_e32 v60, 0x91a3
	v_add_nc_u32_e32 v0, 0x1c2, v0
	v_add_co_u32 v4, s0, s8, v4
	v_add_co_ci_u32_e64 v5, s0, s9, v5, s0
	v_lshlrev_b64 v[28:29], 2, v[8:9]
	v_lshlrev_b64 v[30:31], 2, v[30:31]
	v_mul_u32_u24_sdwa v32, v21, v60 dst_sel:DWORD dst_unused:UNUSED_PAD src0_sel:WORD_0 src1_sel:DWORD
	global_load_dwordx2 v[8:9], v[4:5], off offset:1760
	v_lshlrev_b32_e32 v58, 2, v58
	v_add_co_u32 v28, s0, s8, v28
	v_add_co_ci_u32_e64 v29, s0, s9, v29, s0
	v_add_co_u32 v30, s0, s8, v30
	v_add_co_ci_u32_e64 v31, s0, s9, v31, s0
	global_load_dwordx2 v[28:29], v[28:29], off offset:1760
	v_lshrrev_b32_e32 v59, 24, v32
	v_lshlrev_b64 v[32:33], 2, v[0:1]
	v_mul_u32_u24_sdwa v0, v20, v60 dst_sel:DWORD dst_unused:UNUSED_PAD src0_sel:WORD_0 src1_sel:DWORD
	global_load_dwordx2 v[30:31], v[30:31], off offset:1760
	v_mul_lo_u16 v61, 0x1c2, v59
	v_lshrrev_b32_e32 v62, 24, v0
	v_add_co_u32 v32, s0, s8, v32
	v_add_co_ci_u32_e64 v33, s0, s9, v33, s0
	v_sub_nc_u16 v0, v21, v61
	v_mul_lo_u16 v61, 0x1c2, v62
	v_mul_u32_u24_sdwa v62, v19, v60 dst_sel:DWORD dst_unused:UNUSED_PAD src0_sel:WORD_0 src1_sel:DWORD
	global_load_dwordx2 v[32:33], v[32:33], off offset:1760
	v_mul_u32_u24_sdwa v60, v18, v60 dst_sel:DWORD dst_unused:UNUSED_PAD src0_sel:WORD_0 src1_sel:DWORD
	v_lshlrev_b32_sdwa v57, v57, v0 dst_sel:DWORD dst_unused:UNUSED_PAD src0_sel:DWORD src1_sel:WORD_0
	v_sub_nc_u16 v61, v20, v61
	v_lshrrev_b32_e32 v64, 24, v62
	v_cmp_lt_u32_e64 s0, 44, v12
	v_lshrrev_b32_e32 v66, 24, v60
	global_load_dwordx2 v[62:63], v57, s[8:9] offset:1760
	v_and_b32_e32 v57, 0xffff, v61
	v_mul_lo_u16 v61, 0x1c2, v64
	v_lshlrev_b32_sdwa v0, v56, v0 dst_sel:DWORD dst_unused:UNUSED_PAD src0_sel:DWORD src1_sel:WORD_0
	v_lshlrev_b32_e32 v64, 3, v57
	v_sub_nc_u16 v61, v19, v61
	global_load_dwordx2 v[64:65], v64, s[8:9] offset:1760
	v_and_b32_e32 v60, 0xffff, v61
	v_mul_lo_u16 v61, 0x1c2, v66
	v_lshlrev_b32_e32 v66, 3, v60
	v_sub_nc_u16 v61, v18, v61
	global_load_dwordx2 v[66:67], v66, s[8:9] offset:1760
	v_and_b32_e32 v61, 0xffff, v61
	v_lshlrev_b32_e32 v68, 3, v61
	global_load_dwordx2 v[68:69], v68, s[8:9] offset:1760
	ds_read2_b32 v[70:71], v46 offset0:70 offset1:205
	ds_read2_b32 v[72:73], v38 offset0:12 offset1:147
	ds_read_u16 v78, v34 offset:5942
	ds_read2_b32 v[74:75], v40 offset0:84 offset1:219
	ds_read2_b32 v[76:77], v45 offset0:26 offset1:161
	s_waitcnt lgkmcnt(4)
	v_lshrrev_b32_e32 v79, 16, v70
	s_waitcnt lgkmcnt(3)
	v_lshrrev_b32_e32 v81, 16, v72
	;; [unrolled: 2-line block ×4, first 2 shown]
	s_waitcnt vmcnt(9)
	v_mul_f16_sdwa v80, v10, v70 dst_sel:DWORD dst_unused:UNUSED_PAD src0_sel:WORD_1 src1_sel:DWORD
	v_mul_f16_sdwa v82, v11, v72 dst_sel:DWORD dst_unused:UNUSED_PAD src0_sel:WORD_1 src1_sel:DWORD
	;; [unrolled: 1-line block ×3, first 2 shown]
	v_fmac_f16_e32 v80, v10, v79
	v_lshrrev_b32_e32 v79, 16, v73
	v_fmac_f16_e32 v82, v11, v81
	v_mul_f16_sdwa v81, v11, v81 dst_sel:DWORD dst_unused:UNUSED_PAD src0_sel:WORD_1 src1_sel:DWORD
	v_fma_f16 v70, v10, v70, -v83
	s_waitcnt vmcnt(8)
	v_mul_f16_sdwa v10, v78, v26 dst_sel:DWORD dst_unused:UNUSED_PAD src0_sel:DWORD src1_sel:WORD_1
	ds_read_b32 v83, v48
	ds_read_b32 v84, v47
	;; [unrolled: 1-line block ×7, first 2 shown]
	v_mul_f16_sdwa v90, v79, v27 dst_sel:DWORD dst_unused:UNUSED_PAD src0_sel:DWORD src1_sel:WORD_1
	v_mul_f16_sdwa v91, v26, v71 dst_sel:DWORD dst_unused:UNUSED_PAD src0_sel:WORD_1 src1_sel:DWORD
	v_mul_f16_sdwa v92, v73, v27 dst_sel:DWORD dst_unused:UNUSED_PAD src0_sel:DWORD src1_sel:WORD_1
	v_fma_f16 v72, v11, v72, -v81
	v_fma_f16 v71, v26, v71, -v10
	ds_read2_b32 v[10:11], v35 offset0:98 offset1:233
	v_fma_f16 v73, v73, v27, -v90
	v_fmac_f16_e32 v91, v78, v26
	v_fmac_f16_e32 v92, v79, v27
	v_lshrrev_b32_e32 v78, 16, v74
	s_waitcnt vmcnt(7)
	v_mul_f16_sdwa v79, v74, v8 dst_sel:DWORD dst_unused:UNUSED_PAD src0_sel:DWORD src1_sel:WORD_1
	ds_read2_b32 v[26:27], v37 offset0:40 offset1:175
	v_lshrrev_b32_e32 v81, 16, v76
	v_mul_f16_sdwa v90, v76, v9 dst_sel:DWORD dst_unused:UNUSED_PAD src0_sel:DWORD src1_sel:WORD_1
	v_fmac_f16_e32 v79, v78, v8
	v_mul_f16_sdwa v78, v78, v8 dst_sel:DWORD dst_unused:UNUSED_PAD src0_sel:DWORD src1_sel:WORD_1
	v_fmac_f16_e32 v90, v81, v9
	v_mul_f16_sdwa v81, v81, v9 dst_sel:DWORD dst_unused:UNUSED_PAD src0_sel:DWORD src1_sel:WORD_1
	s_waitcnt vmcnt(6)
	v_mul_f16_sdwa v95, v75, v28 dst_sel:DWORD dst_unused:UNUSED_PAD src0_sel:DWORD src1_sel:WORD_1
	v_fma_f16 v74, v74, v8, -v78
	v_mul_f16_sdwa v78, v94, v29 dst_sel:DWORD dst_unused:UNUSED_PAD src0_sel:DWORD src1_sel:WORD_1
	v_mul_f16_sdwa v8, v93, v28 dst_sel:DWORD dst_unused:UNUSED_PAD src0_sel:DWORD src1_sel:WORD_1
	v_fma_f16 v76, v76, v9, -v81
	v_mul_f16_sdwa v81, v77, v29 dst_sel:DWORD dst_unused:UNUSED_PAD src0_sel:DWORD src1_sel:WORD_1
	v_fmac_f16_e32 v95, v93, v28
	v_fma_f16 v77, v77, v29, -v78
	s_waitcnt lgkmcnt(1)
	v_lshrrev_b32_e32 v78, 16, v10
	s_waitcnt vmcnt(5)
	v_mul_f16_sdwa v93, v10, v30 dst_sel:DWORD dst_unused:UNUSED_PAD src0_sel:DWORD src1_sel:WORD_1
	v_fma_f16 v75, v75, v28, -v8
	ds_read2_b32 v[8:9], v42 offset0:112 offset1:247
	v_fmac_f16_e32 v81, v94, v29
	v_lshrrev_b32_e32 v97, 16, v11
	ds_read2_b32 v[28:29], v15 offset0:54 offset1:189
	v_fmac_f16_e32 v93, v78, v30
	v_mul_f16_sdwa v78, v78, v30 dst_sel:DWORD dst_unused:UNUSED_PAD src0_sel:DWORD src1_sel:WORD_1
	s_waitcnt lgkmcnt(2)
	v_lshrrev_b32_e32 v100, 16, v27
	v_lshrrev_b32_e32 v94, 16, v26
	v_mul_f16_sdwa v96, v26, v31 dst_sel:DWORD dst_unused:UNUSED_PAD src0_sel:DWORD src1_sel:WORD_1
	s_waitcnt vmcnt(4)
	v_mul_f16_sdwa v99, v97, v32 dst_sel:DWORD dst_unused:UNUSED_PAD src0_sel:DWORD src1_sel:WORD_1
	v_fma_f16 v30, v10, v30, -v78
	v_mul_f16_sdwa v10, v100, v33 dst_sel:DWORD dst_unused:UNUSED_PAD src0_sel:DWORD src1_sel:WORD_1
	v_mul_f16_sdwa v98, v94, v31 dst_sel:DWORD dst_unused:UNUSED_PAD src0_sel:DWORD src1_sel:WORD_1
	v_fmac_f16_e32 v96, v94, v31
	v_fma_f16 v78, v11, v32, -v99
	v_mul_f16_sdwa v94, v11, v32 dst_sel:DWORD dst_unused:UNUSED_PAD src0_sel:DWORD src1_sel:WORD_1
	v_fma_f16 v102, v27, v33, -v10
	ds_read2_b32 v[10:11], v36 offset0:62 offset1:197
	v_fma_f16 v31, v26, v31, -v98
	v_mul_f16_sdwa v98, v27, v33 dst_sel:DWORD dst_unused:UNUSED_PAD src0_sel:DWORD src1_sel:WORD_1
	ds_read2_b32 v[26:27], v41 offset0:68 offset1:203
	s_waitcnt lgkmcnt(3)
	v_lshrrev_b32_e32 v99, 16, v8
	s_waitcnt vmcnt(3)
	v_mul_f16_sdwa v101, v8, v62 dst_sel:DWORD dst_unused:UNUSED_PAD src0_sel:DWORD src1_sel:WORD_1
	v_fmac_f16_e32 v94, v97, v32
	v_fmac_f16_e32 v98, v100, v33
	s_waitcnt lgkmcnt(2)
	v_lshrrev_b32_e32 v32, 16, v28
	v_lshrrev_b32_e32 v33, 16, v9
	v_mul_f16_sdwa v97, v28, v63 dst_sel:DWORD dst_unused:UNUSED_PAD src0_sel:DWORD src1_sel:WORD_1
	v_lshrrev_b32_e32 v100, 16, v29
	v_fmac_f16_e32 v101, v99, v62
	v_mul_f16_sdwa v99, v99, v62 dst_sel:DWORD dst_unused:UNUSED_PAD src0_sel:DWORD src1_sel:WORD_1
	v_mul_f16_sdwa v103, v32, v63 dst_sel:DWORD dst_unused:UNUSED_PAD src0_sel:DWORD src1_sel:WORD_1
	s_waitcnt vmcnt(2)
	v_mul_f16_sdwa v104, v33, v64 dst_sel:DWORD dst_unused:UNUSED_PAD src0_sel:DWORD src1_sel:WORD_1
	v_fmac_f16_e32 v97, v32, v63
	v_mul_f16_sdwa v32, v100, v65 dst_sel:DWORD dst_unused:UNUSED_PAD src0_sel:DWORD src1_sel:WORD_1
	v_fma_f16 v8, v8, v62, -v99
	v_fma_f16 v28, v28, v63, -v103
	;; [unrolled: 1-line block ×3, first 2 shown]
	v_mul_f16_sdwa v9, v9, v64 dst_sel:DWORD dst_unused:UNUSED_PAD src0_sel:DWORD src1_sel:WORD_1
	v_mul_f16_sdwa v63, v29, v65 dst_sel:DWORD dst_unused:UNUSED_PAD src0_sel:DWORD src1_sel:WORD_1
	v_fma_f16 v29, v29, v65, -v32
	s_waitcnt lgkmcnt(1)
	v_lshrrev_b32_e32 v32, 16, v10
	s_waitcnt vmcnt(1)
	v_mul_f16_sdwa v99, v10, v66 dst_sel:DWORD dst_unused:UNUSED_PAD src0_sel:DWORD src1_sel:WORD_1
	v_fmac_f16_e32 v9, v33, v64
	v_fmac_f16_e32 v63, v100, v65
	s_waitcnt lgkmcnt(0)
	v_lshrrev_b32_e32 v33, 16, v26
	v_mul_f16_sdwa v64, v26, v67 dst_sel:DWORD dst_unused:UNUSED_PAD src0_sel:DWORD src1_sel:WORD_1
	v_fmac_f16_e32 v99, v32, v66
	v_mul_f16_sdwa v32, v32, v66 dst_sel:DWORD dst_unused:UNUSED_PAD src0_sel:DWORD src1_sel:WORD_1
	v_lshrrev_b32_e32 v100, 16, v27
	v_lshrrev_b32_e32 v65, 16, v11
	v_fmac_f16_e32 v64, v33, v67
	v_mul_f16_sdwa v33, v33, v67 dst_sel:DWORD dst_unused:UNUSED_PAD src0_sel:DWORD src1_sel:WORD_1
	v_fma_f16 v10, v10, v66, -v32
	s_waitcnt vmcnt(0)
	v_mul_f16_sdwa v32, v100, v69 dst_sel:DWORD dst_unused:UNUSED_PAD src0_sel:DWORD src1_sel:WORD_1
	v_mul_f16_sdwa v103, v65, v68 dst_sel:DWORD dst_unused:UNUSED_PAD src0_sel:DWORD src1_sel:WORD_1
	;; [unrolled: 1-line block ×3, first 2 shown]
	v_fma_f16 v26, v26, v67, -v33
	v_mul_f16_sdwa v33, v27, v69 dst_sel:DWORD dst_unused:UNUSED_PAD src0_sel:DWORD src1_sel:WORD_1
	v_fma_f16 v27, v27, v69, -v32
	ds_read_b32 v32, v50
	v_fma_f16 v11, v11, v68, -v103
	v_fmac_f16_e32 v66, v65, v68
	v_add_f16_e32 v65, v70, v72
	v_fmac_f16_e32 v33, v100, v69
	v_lshrrev_b32_e32 v67, 16, v89
	v_add_f16_e32 v68, v80, v82
	v_add_f16_e32 v69, v89, v70
	v_fmac_f16_e32 v89, -0.5, v65
	v_sub_f16_e32 v65, v80, v82
	v_add_f16_e32 v80, v67, v80
	v_fmac_f16_e32 v67, -0.5, v68
	v_add_f16_e32 v68, v69, v72
	v_sub_f16_e32 v69, v70, v72
	ds_read_b32 v72, v51
	v_fmamk_f16 v70, v65, 0x3aee, v89
	v_fmac_f16_e32 v89, 0xbaee, v65
	v_add_f16_e32 v65, v80, v82
	ds_read_b32 v82, v53
	v_fmamk_f16 v80, v69, 0xbaee, v67
	v_fmac_f16_e32 v67, 0x3aee, v69
	v_add_f16_e32 v69, v71, v73
	s_waitcnt lgkmcnt(2)
	v_lshrrev_b32_e32 v100, 16, v32
	v_add_f16_e32 v103, v91, v92
	v_add_f16_e32 v104, v32, v71
	v_sub_f16_e32 v71, v71, v73
	v_fmac_f16_e32 v32, -0.5, v69
	v_sub_f16_e32 v69, v91, v92
	v_add_f16_e32 v91, v100, v91
	v_fmac_f16_e32 v100, -0.5, v103
	v_add_f16_e32 v73, v104, v73
	v_add_f16_e32 v104, v79, v90
	v_fmamk_f16 v103, v69, 0x3aee, v32
	v_fmac_f16_e32 v32, 0xbaee, v69
	v_add_f16_e32 v69, v91, v92
	v_fmamk_f16 v91, v71, 0xbaee, v100
	v_add_f16_e32 v92, v74, v76
	v_fmac_f16_e32 v100, 0x3aee, v71
	s_waitcnt lgkmcnt(1)
	v_lshrrev_b32_e32 v71, 16, v72
	v_add_f16_e32 v105, v72, v74
	v_sub_f16_e32 v74, v74, v76
	v_fmac_f16_e32 v72, -0.5, v92
	v_sub_f16_e32 v92, v79, v90
	v_add_f16_e32 v79, v71, v79
	v_fmac_f16_e32 v71, -0.5, v104
	v_pack_b32_f16 v65, v68, v65
	v_add_f16_e32 v76, v105, v76
	v_fmamk_f16 v104, v92, 0x3aee, v72
	v_fmac_f16_e32 v72, 0xbaee, v92
	v_add_f16_e32 v79, v79, v90
	v_fmamk_f16 v90, v74, 0xbaee, v71
	v_add_f16_e32 v92, v75, v77
	v_fmac_f16_e32 v71, 0x3aee, v74
	v_lshrrev_b32_e32 v74, 16, v87
	v_pack_b32_f16 v68, v70, v80
	v_add_f16_e32 v105, v95, v81
	v_add_f16_e32 v106, v87, v75
	v_fmac_f16_e32 v87, -0.5, v92
	v_sub_f16_e32 v92, v95, v81
	v_add_f16_e32 v95, v74, v95
	s_waitcnt lgkmcnt(0)
	s_barrier
	buffer_gl0_inv
	ds_write_b32 v34, v65
	ds_write_b32 v34, v68 offset:1800
	v_pack_b32_f16 v65, v89, v67
	v_pack_b32_f16 v32, v32, v100
	;; [unrolled: 1-line block ×5, first 2 shown]
	v_fmac_f16_e32 v74, -0.5, v105
	v_sub_f16_e32 v75, v75, v77
	v_add_f16_e32 v77, v106, v77
	v_add_f16_e32 v81, v95, v81
	ds_write_b32 v34, v65 offset:3600
	ds_write_b32 v50, v67
	ds_write_b32 v50, v68 offset:1800
	v_cndmask_b32_e64 v65, 0, 0x1518, s0
	ds_write_b32 v50, v32 offset:3600
	ds_write_b32 v51, v69
	v_pack_b32_f16 v32, v104, v90
	v_add_f16_e32 v70, v30, v31
	v_pack_b32_f16 v67, v72, v71
	v_fmamk_f16 v105, v92, 0x3aee, v87
	v_fmac_f16_e32 v87, 0xbaee, v92
	v_fmamk_f16 v92, v75, 0xbaee, v74
	v_fmac_f16_e32 v74, 0x3aee, v75
	v_add3_u32 v58, 0, v65, v58
	v_pack_b32_f16 v65, v77, v81
	ds_write_b32 v51, v32 offset:1800
	ds_write_b32 v51, v67 offset:3600
	v_add_f16_e32 v32, v83, v30
	v_lshrrev_b32_e32 v67, 16, v83
	v_fmac_f16_e32 v83, -0.5, v70
	v_sub_f16_e32 v70, v93, v96
	v_pack_b32_f16 v69, v87, v74
	ds_write_b32 v58, v65
	v_lshrrev_b32_e32 v65, 16, v84
	v_add_f16_e32 v74, v93, v96
	v_fmamk_f16 v75, v70, 0x3aee, v83
	v_add_f16_e32 v76, v78, v102
	v_fmac_f16_e32 v83, 0xbaee, v70
	v_add_f16_e32 v70, v94, v98
	v_add_f16_e32 v32, v32, v31
	;; [unrolled: 1-line block ×5, first 2 shown]
	v_fmac_f16_e32 v67, -0.5, v74
	v_sub_f16_e32 v30, v30, v31
	v_fmac_f16_e32 v84, -0.5, v76
	v_sub_f16_e32 v31, v94, v98
	;; [unrolled: 2-line block ×3, first 2 shown]
	v_add_f16_e32 v71, v71, v96
	v_fmamk_f16 v74, v30, 0xbaee, v67
	v_fmac_f16_e32 v67, 0x3aee, v30
	v_fmamk_f16 v30, v31, 0x3aee, v84
	v_fmac_f16_e32 v84, 0xbaee, v31
	v_fmamk_f16 v31, v70, 0xbaee, v65
	v_pack_b32_f16 v68, v105, v92
	v_add_f16_e32 v72, v72, v102
	v_add_f16_e32 v73, v73, v98
	v_fmac_f16_e32 v65, 0x3aee, v70
	v_pack_b32_f16 v32, v32, v71
	v_pack_b32_f16 v71, v75, v74
	;; [unrolled: 1-line block ×3, first 2 shown]
	ds_write_b32 v58, v68 offset:1800
	v_pack_b32_f16 v68, v72, v73
	v_pack_b32_f16 v67, v83, v67
	;; [unrolled: 1-line block ×3, first 2 shown]
	v_add_nc_u32_e32 v70, 0x2400, v34
	ds_write_b32 v58, v69 offset:3600
	ds_write2_b32 v52, v32, v68 offset0:32 offset1:167
	ds_write2_b32 v70, v67, v65 offset0:36 offset1:171
	;; [unrolled: 1-line block ×3, first 2 shown]
	v_lshrrev_b32_e32 v30, 16, v88
	v_add_f16_e32 v31, v8, v28
	v_add_f16_e32 v32, v101, v97
	;; [unrolled: 1-line block ×3, first 2 shown]
	v_sub_f16_e32 v8, v8, v28
	v_add_f16_e32 v58, v30, v101
	v_fmac_f16_e32 v88, -0.5, v31
	v_sub_f16_e32 v31, v101, v97
	v_fmac_f16_e32 v30, -0.5, v32
	v_add_f16_e32 v32, v52, v28
	v_mul_u32_u24_e32 v52, 0x1518, v59
	v_add_f16_e32 v56, v58, v97
	v_fmamk_f16 v28, v31, 0x3aee, v88
	v_fmamk_f16 v58, v8, 0xbaee, v30
	v_fmac_f16_e32 v88, 0xbaee, v31
	v_fmac_f16_e32 v30, 0x3aee, v8
	v_add3_u32 v0, 0, v52, v0
	v_pack_b32_f16 v8, v32, v56
	v_add_f16_e32 v31, v62, v29
	v_lshrrev_b32_e32 v32, 16, v85
	v_add_f16_e32 v52, v9, v63
	v_add_f16_e32 v56, v85, v62
	v_pack_b32_f16 v28, v28, v58
	v_fmac_f16_e32 v85, -0.5, v31
	v_add_f16_e32 v31, v32, v9
	v_fmac_f16_e32 v32, -0.5, v52
	v_sub_f16_e32 v9, v9, v63
	v_sub_f16_e32 v52, v62, v29
	ds_write_b32 v0, v8
	v_add_f16_e32 v8, v56, v29
	v_add_f16_e32 v29, v31, v63
	v_fmamk_f16 v31, v9, 0x3aee, v85
	v_fmamk_f16 v56, v52, 0xbaee, v32
	v_fmac_f16_e32 v85, 0xbaee, v9
	v_fmac_f16_e32 v32, 0x3aee, v52
	v_pack_b32_f16 v30, v88, v30
	v_lshl_add_u32 v9, v57, 2, 0
	ds_write_b32 v0, v28 offset:1800
	v_pack_b32_f16 v8, v8, v29
	v_pack_b32_f16 v28, v85, v32
	;; [unrolled: 1-line block ×3, first 2 shown]
	ds_write_b32 v0, v30 offset:3600
	ds_write_b32 v9, v8 offset:10800
	;; [unrolled: 1-line block ×3, first 2 shown]
	v_add_f16_e32 v0, v10, v26
	ds_write_b32 v9, v28 offset:14400
	v_lshrrev_b32_e32 v8, 16, v86
	v_add_f16_e32 v9, v99, v64
	v_add_f16_e32 v28, v86, v10
	v_fmac_f16_e32 v86, -0.5, v0
	v_sub_f16_e32 v0, v99, v64
	v_add_f16_e32 v29, v8, v99
	v_fmac_f16_e32 v8, -0.5, v9
	v_sub_f16_e32 v9, v10, v26
	v_add_f16_e32 v10, v28, v26
	v_fmamk_f16 v26, v0, 0x3aee, v86
	v_fmac_f16_e32 v86, 0xbaee, v0
	v_add_f16_e32 v0, v29, v64
	v_fmamk_f16 v28, v9, 0xbaee, v8
	v_add_f16_e32 v29, v11, v27
	v_fmac_f16_e32 v8, 0x3aee, v9
	v_lshrrev_b32_e32 v9, 16, v82
	v_add_f16_e32 v30, v66, v33
	v_add_f16_e32 v31, v82, v11
	v_fmac_f16_e32 v82, -0.5, v29
	v_sub_f16_e32 v29, v66, v33
	v_add_f16_e32 v32, v9, v66
	v_fmac_f16_e32 v9, -0.5, v30
	v_sub_f16_e32 v11, v11, v27
	v_add_f16_e32 v27, v31, v27
	v_fmamk_f16 v30, v29, 0x3aee, v82
	v_fmac_f16_e32 v82, 0xbaee, v29
	v_add_f16_e32 v29, v32, v33
	v_fmamk_f16 v31, v11, 0xbaee, v9
	v_fmac_f16_e32 v9, 0x3aee, v11
	v_pack_b32_f16 v0, v10, v0
	v_lshl_add_u32 v11, v60, 2, 0
	v_pack_b32_f16 v10, v26, v28
	v_pack_b32_f16 v8, v86, v8
	;; [unrolled: 1-line block ×3, first 2 shown]
	v_lshl_add_u32 v27, v61, 2, 0
	v_pack_b32_f16 v28, v30, v31
	ds_write_b32 v11, v0 offset:10800
	ds_write_b32 v11, v10 offset:12600
	;; [unrolled: 1-line block ×5, first 2 shown]
	v_pack_b32_f16 v0, v82, v9
	v_add_co_u32 v2, s0, 0x1000, v2
	v_add_co_ci_u32_e64 v3, s0, 0, v3, s0
	ds_write_b32 v27, v0 offset:14400
	v_lshlrev_b32_e32 v0, 1, v24
	v_add_co_u32 v6, s0, 0x1000, v6
	v_add_co_ci_u32_e64 v7, s0, 0, v7, s0
	v_lshlrev_b64 v[8:9], 2, v[0:1]
	v_add_co_u32 v10, s0, 0x1000, v4
	s_waitcnt lgkmcnt(0)
	s_barrier
	buffer_gl0_inv
	global_load_dwordx2 v[2:3], v[2:3], off offset:1264
	v_add_co_ci_u32_e64 v11, s0, 0, v5, s0
	global_load_dwordx2 v[4:5], v[6:7], off offset:1264
	v_lshlrev_b32_e32 v0, 1, v23
	v_add_co_u32 v6, s0, s8, v8
	v_add_co_ci_u32_e64 v7, s0, s9, v9, s0
	v_lshlrev_b64 v[26:27], 2, v[0:1]
	v_add_co_u32 v6, s0, 0x1000, v6
	v_lshlrev_b32_e32 v0, 1, v22
	v_add_co_ci_u32_e64 v7, s0, 0, v7, s0
	v_add_co_u32 v26, s0, s8, v26
	s_clause 0x1
	global_load_dwordx2 v[8:9], v[10:11], off offset:1264
	global_load_dwordx2 v[6:7], v[6:7], off offset:1264
	v_lshlrev_b64 v[10:11], 2, v[0:1]
	v_add_co_ci_u32_e64 v27, s0, s9, v27, s0
	v_lshlrev_b32_e32 v0, 1, v21
	v_add_co_u32 v26, s0, 0x1000, v26
	v_add_co_ci_u32_e64 v27, s0, 0, v27, s0
	v_add_co_u32 v28, s0, s8, v10
	v_add_co_ci_u32_e64 v29, s0, s9, v11, s0
	v_lshlrev_b64 v[10:11], 2, v[0:1]
	v_lshlrev_b32_e32 v0, 1, v20
	v_add_co_u32 v28, s0, 0x1000, v28
	v_add_co_ci_u32_e64 v29, s0, 0, v29, s0
	v_lshlrev_b64 v[30:31], 2, v[0:1]
	v_add_co_u32 v0, s0, s8, v10
	v_add_co_ci_u32_e64 v32, s0, s9, v11, s0
	s_clause 0x1
	global_load_dwordx2 v[26:27], v[26:27], off offset:1264
	global_load_dwordx2 v[10:11], v[28:29], off offset:1264
	v_add_co_u32 v28, s0, 0x1000, v0
	v_add_co_ci_u32_e64 v29, s0, 0, v32, s0
	v_add_co_u32 v30, s0, s8, v30
	v_add_co_ci_u32_e64 v31, s0, s9, v31, s0
	v_lshlrev_b32_e32 v0, 1, v19
	v_add_co_u32 v30, s0, 0x1000, v30
	v_add_co_ci_u32_e64 v31, s0, 0, v31, s0
	v_lshlrev_b64 v[32:33], 2, v[0:1]
	s_clause 0x1
	global_load_dwordx2 v[56:57], v[28:29], off offset:1264
	global_load_dwordx2 v[58:59], v[30:31], off offset:1264
	v_lshlrev_b32_e32 v0, 1, v18
	v_add_co_u32 v28, s0, s8, v32
	v_add_co_ci_u32_e64 v29, s0, s9, v33, s0
	v_lshlrev_b64 v[30:31], 2, v[0:1]
	v_add_co_u32 v28, s0, 0x1000, v28
	v_add_co_ci_u32_e64 v29, s0, 0, v29, s0
	v_add_co_u32 v0, s0, s8, v30
	global_load_dwordx2 v[32:33], v[28:29], off offset:1264
	v_add_co_ci_u32_e64 v29, s0, s9, v31, s0
	v_add_co_u32 v28, s0, 0x1000, v0
	v_add_co_ci_u32_e64 v29, s0, 0, v29, s0
	global_load_dwordx2 v[60:61], v[28:29], off offset:1264
	ds_read2_b32 v[62:63], v46 offset0:70 offset1:205
	ds_read2_b32 v[64:65], v38 offset0:12 offset1:147
	ds_read_u16 v38, v34 offset:5942
	ds_read2_b32 v[66:67], v40 offset0:84 offset1:219
	ds_read2_b32 v[45:46], v45 offset0:26 offset1:161
	s_waitcnt lgkmcnt(4)
	v_lshrrev_b32_e32 v0, 16, v62
	s_waitcnt lgkmcnt(3)
	v_lshrrev_b32_e32 v28, 16, v64
	v_lshrrev_b32_e32 v70, 16, v65
	s_waitcnt vmcnt(9)
	v_mul_f16_sdwa v69, v2, v0 dst_sel:DWORD dst_unused:UNUSED_PAD src0_sel:WORD_1 src1_sel:DWORD
	v_mul_f16_sdwa v40, v3, v28 dst_sel:DWORD dst_unused:UNUSED_PAD src0_sel:WORD_1 src1_sel:DWORD
	;; [unrolled: 1-line block ×3, first 2 shown]
	s_waitcnt vmcnt(8)
	v_mul_f16_sdwa v74, v70, v5 dst_sel:DWORD dst_unused:UNUSED_PAD src0_sel:DWORD src1_sel:WORD_1
	v_mul_f16_sdwa v68, v3, v64 dst_sel:DWORD dst_unused:UNUSED_PAD src0_sel:WORD_1 src1_sel:DWORD
	s_waitcnt lgkmcnt(2)
	v_mul_f16_sdwa v73, v38, v4 dst_sel:DWORD dst_unused:UNUSED_PAD src0_sel:DWORD src1_sel:WORD_1
	v_fma_f16 v62, v2, v62, -v69
	v_mul_f16_sdwa v69, v4, v63 dst_sel:DWORD dst_unused:UNUSED_PAD src0_sel:WORD_1 src1_sel:DWORD
	v_fma_f16 v40, v3, v64, -v40
	v_fma_f16 v64, v65, v5, -v74
	v_mul_f16_sdwa v65, v65, v5 dst_sel:DWORD dst_unused:UNUSED_PAD src0_sel:DWORD src1_sel:WORD_1
	v_fmac_f16_e32 v52, v2, v0
	v_fmac_f16_e32 v68, v3, v28
	ds_read_b32 v30, v47
	ds_read_b32 v28, v55
	;; [unrolled: 1-line block ×7, first 2 shown]
	v_fma_f16 v63, v4, v63, -v73
	v_fmac_f16_e32 v69, v38, v4
	ds_read2_b32 v[2:3], v35 offset0:98 offset1:233
	v_fmac_f16_e32 v65, v70, v5
	ds_read2_b32 v[4:5], v37 offset0:40 offset1:175
	s_waitcnt lgkmcnt(10)
	v_lshrrev_b32_e32 v38, 16, v66
	s_waitcnt vmcnt(7)
	v_mul_f16_sdwa v73, v66, v8 dst_sel:DWORD dst_unused:UNUSED_PAD src0_sel:DWORD src1_sel:WORD_1
	s_waitcnt lgkmcnt(9)
	v_lshrrev_b32_e32 v35, 16, v45
	v_mul_f16_sdwa v70, v45, v9 dst_sel:DWORD dst_unused:UNUSED_PAD src0_sel:DWORD src1_sel:WORD_1
	v_lshrrev_b32_e32 v37, 16, v67
	v_lshrrev_b32_e32 v74, 16, v46
	v_fmac_f16_e32 v73, v38, v8
	v_mul_f16_sdwa v38, v38, v8 dst_sel:DWORD dst_unused:UNUSED_PAD src0_sel:DWORD src1_sel:WORD_1
	v_fmac_f16_e32 v70, v35, v9
	v_mul_f16_sdwa v35, v35, v9 dst_sel:DWORD dst_unused:UNUSED_PAD src0_sel:DWORD src1_sel:WORD_1
	s_waitcnt vmcnt(6)
	v_mul_f16_sdwa v75, v37, v6 dst_sel:DWORD dst_unused:UNUSED_PAD src0_sel:DWORD src1_sel:WORD_1
	v_mul_f16_sdwa v76, v74, v7 dst_sel:DWORD dst_unused:UNUSED_PAD src0_sel:DWORD src1_sel:WORD_1
	v_fma_f16 v38, v66, v8, -v38
	v_mul_f16_sdwa v66, v67, v6 dst_sel:DWORD dst_unused:UNUSED_PAD src0_sel:DWORD src1_sel:WORD_1
	v_fma_f16 v35, v45, v9, -v35
	v_fma_f16 v45, v67, v6, -v75
	;; [unrolled: 1-line block ×3, first 2 shown]
	v_mul_f16_sdwa v46, v46, v7 dst_sel:DWORD dst_unused:UNUSED_PAD src0_sel:DWORD src1_sel:WORD_1
	ds_read2_b32 v[8:9], v42 offset0:112 offset1:247
	v_fmac_f16_e32 v66, v37, v6
	s_waitcnt lgkmcnt(2)
	v_lshrrev_b32_e32 v37, 16, v2
	s_waitcnt lgkmcnt(1)
	v_lshrrev_b32_e32 v42, 16, v4
	s_waitcnt vmcnt(5)
	v_mul_f16_sdwa v75, v2, v26 dst_sel:DWORD dst_unused:UNUSED_PAD src0_sel:DWORD src1_sel:WORD_1
	v_fmac_f16_e32 v46, v74, v7
	v_mul_f16_sdwa v74, v4, v27 dst_sel:DWORD dst_unused:UNUSED_PAD src0_sel:DWORD src1_sel:WORD_1
	ds_read2_b32 v[6:7], v15 offset0:54 offset1:189
	v_lshrrev_b32_e32 v15, 16, v3
	v_fmac_f16_e32 v75, v37, v26
	v_lshrrev_b32_e32 v76, 16, v5
	v_mul_f16_sdwa v37, v37, v26 dst_sel:DWORD dst_unused:UNUSED_PAD src0_sel:DWORD src1_sel:WORD_1
	v_fmac_f16_e32 v74, v42, v27
	v_mul_f16_sdwa v42, v42, v27 dst_sel:DWORD dst_unused:UNUSED_PAD src0_sel:DWORD src1_sel:WORD_1
	s_waitcnt vmcnt(4)
	v_mul_f16_sdwa v77, v15, v10 dst_sel:DWORD dst_unused:UNUSED_PAD src0_sel:DWORD src1_sel:WORD_1
	v_mul_f16_sdwa v78, v76, v11 dst_sel:DWORD dst_unused:UNUSED_PAD src0_sel:DWORD src1_sel:WORD_1
	v_fma_f16 v26, v2, v26, -v37
	v_mul_f16_sdwa v37, v3, v10 dst_sel:DWORD dst_unused:UNUSED_PAD src0_sel:DWORD src1_sel:WORD_1
	v_fma_f16 v27, v4, v27, -v42
	v_fma_f16 v42, v3, v10, -v77
	ds_read2_b32 v[2:3], v36 offset0:62 offset1:197
	v_fma_f16 v77, v5, v11, -v78
	v_mul_f16_sdwa v78, v5, v11 dst_sel:DWORD dst_unused:UNUSED_PAD src0_sel:DWORD src1_sel:WORD_1
	v_fmac_f16_e32 v37, v15, v10
	s_waitcnt lgkmcnt(2)
	v_lshrrev_b32_e32 v10, 16, v8
	s_waitcnt vmcnt(3)
	v_mul_f16_sdwa v15, v8, v56 dst_sel:DWORD dst_unused:UNUSED_PAD src0_sel:DWORD src1_sel:WORD_1
	ds_read2_b32 v[4:5], v41 offset0:68 offset1:203
	v_fmac_f16_e32 v78, v76, v11
	s_waitcnt lgkmcnt(2)
	v_lshrrev_b32_e32 v11, 16, v6
	v_mul_f16_sdwa v36, v6, v57 dst_sel:DWORD dst_unused:UNUSED_PAD src0_sel:DWORD src1_sel:WORD_1
	v_fmac_f16_e32 v15, v10, v56
	v_mul_f16_sdwa v10, v10, v56 dst_sel:DWORD dst_unused:UNUSED_PAD src0_sel:DWORD src1_sel:WORD_1
	v_lshrrev_b32_e32 v76, 16, v7
	v_lshrrev_b32_e32 v41, 16, v9
	v_fmac_f16_e32 v36, v11, v57
	v_mul_f16_sdwa v11, v11, v57 dst_sel:DWORD dst_unused:UNUSED_PAD src0_sel:DWORD src1_sel:WORD_1
	v_fma_f16 v8, v8, v56, -v10
	s_waitcnt vmcnt(2)
	v_mul_f16_sdwa v10, v76, v59 dst_sel:DWORD dst_unused:UNUSED_PAD src0_sel:DWORD src1_sel:WORD_1
	v_mul_f16_sdwa v79, v41, v58 dst_sel:DWORD dst_unused:UNUSED_PAD src0_sel:DWORD src1_sel:WORD_1
	;; [unrolled: 1-line block ×3, first 2 shown]
	v_fma_f16 v6, v6, v57, -v11
	v_mul_f16_sdwa v11, v7, v59 dst_sel:DWORD dst_unused:UNUSED_PAD src0_sel:DWORD src1_sel:WORD_1
	v_fma_f16 v7, v7, v59, -v10
	s_waitcnt lgkmcnt(1)
	v_lshrrev_b32_e32 v10, 16, v2
	s_waitcnt vmcnt(1)
	v_mul_f16_sdwa v57, v2, v32 dst_sel:DWORD dst_unused:UNUSED_PAD src0_sel:DWORD src1_sel:WORD_1
	v_fma_f16 v9, v9, v58, -v79
	v_fmac_f16_e32 v56, v41, v58
	v_fmac_f16_e32 v11, v76, v59
	s_waitcnt lgkmcnt(0)
	v_lshrrev_b32_e32 v41, 16, v4
	v_mul_f16_sdwa v58, v4, v33 dst_sel:DWORD dst_unused:UNUSED_PAD src0_sel:DWORD src1_sel:WORD_1
	v_fmac_f16_e32 v57, v10, v32
	v_mul_f16_sdwa v10, v10, v32 dst_sel:DWORD dst_unused:UNUSED_PAD src0_sel:DWORD src1_sel:WORD_1
	v_lshrrev_b32_e32 v76, 16, v5
	v_lshrrev_b32_e32 v59, 16, v3
	v_fmac_f16_e32 v58, v41, v33
	v_mul_f16_sdwa v41, v41, v33 dst_sel:DWORD dst_unused:UNUSED_PAD src0_sel:DWORD src1_sel:WORD_1
	v_fma_f16 v2, v2, v32, -v10
	s_waitcnt vmcnt(0)
	v_mul_f16_sdwa v10, v76, v61 dst_sel:DWORD dst_unused:UNUSED_PAD src0_sel:DWORD src1_sel:WORD_1
	v_mul_f16_sdwa v32, v3, v60 dst_sel:DWORD dst_unused:UNUSED_PAD src0_sel:DWORD src1_sel:WORD_1
	v_mul_f16_sdwa v79, v59, v60 dst_sel:DWORD dst_unused:UNUSED_PAD src0_sel:DWORD src1_sel:WORD_1
	v_fma_f16 v4, v4, v33, -v41
	v_mul_f16_sdwa v33, v5, v61 dst_sel:DWORD dst_unused:UNUSED_PAD src0_sel:DWORD src1_sel:WORD_1
	v_fma_f16 v5, v5, v61, -v10
	ds_read_b32 v10, v50
	v_fmac_f16_e32 v32, v59, v60
	v_add_f16_e32 v41, v62, v40
	v_lshrrev_b32_e32 v59, 16, v72
	v_fma_f16 v3, v3, v60, -v79
	v_add_f16_e32 v60, v52, v68
	v_fmac_f16_e32 v33, v76, v61
	v_add_f16_e32 v61, v72, v62
	v_fmac_f16_e32 v72, -0.5, v41
	v_sub_f16_e32 v41, v52, v68
	v_add_f16_e32 v52, v59, v52
	v_fmac_f16_e32 v59, -0.5, v60
	v_sub_f16_e32 v60, v62, v40
	v_add_f16_e32 v40, v61, v40
	v_fmamk_f16 v61, v41, 0x3aee, v72
	v_fmac_f16_e32 v72, 0xbaee, v41
	v_add_f16_e32 v41, v52, v68
	ds_read_b32 v62, v51
	ds_read_b32 v68, v53
	v_fmamk_f16 v52, v60, 0xbaee, v59
	v_fmac_f16_e32 v59, 0x3aee, v60
	v_add_f16_e32 v60, v63, v64
	s_waitcnt lgkmcnt(2)
	v_lshrrev_b32_e32 v76, 16, v10
	v_add_f16_e32 v79, v69, v65
	v_add_f16_e32 v80, v10, v63
	v_pack_b32_f16 v40, v40, v41
	v_fmac_f16_e32 v10, -0.5, v60
	v_sub_f16_e32 v60, v69, v65
	v_add_f16_e32 v69, v76, v69
	v_fmac_f16_e32 v76, -0.5, v79
	v_sub_f16_e32 v63, v63, v64
	v_add_f16_e32 v64, v80, v64
	v_fmamk_f16 v79, v60, 0x3aee, v10
	v_fmac_f16_e32 v10, 0xbaee, v60
	v_add_f16_e32 v60, v69, v65
	s_waitcnt lgkmcnt(0)
	s_barrier
	buffer_gl0_inv
	ds_write_b32 v34, v40
	v_pack_b32_f16 v40, v61, v52
	v_pack_b32_f16 v52, v64, v60
	v_add_f16_e32 v60, v38, v35
	v_lshrrev_b32_e32 v61, 16, v62
	v_fmamk_f16 v65, v63, 0xbaee, v76
	ds_write_b32 v34, v40 offset:5400
	v_add_f16_e32 v40, v73, v70
	v_fmac_f16_e32 v76, 0x3aee, v63
	v_pack_b32_f16 v41, v72, v59
	v_add_f16_e32 v63, v62, v38
	v_fmac_f16_e32 v62, -0.5, v60
	v_add_f16_e32 v60, v61, v73
	v_sub_f16_e32 v64, v73, v70
	v_fmac_f16_e32 v61, -0.5, v40
	v_sub_f16_e32 v38, v38, v35
	ds_write_b32 v34, v41 offset:10800
	v_add_f16_e32 v35, v63, v35
	v_add_f16_e32 v41, v60, v70
	v_fmamk_f16 v40, v64, 0x3aee, v62
	v_fmamk_f16 v60, v38, 0xbaee, v61
	v_pack_b32_f16 v59, v79, v65
	v_pack_b32_f16 v10, v10, v76
	v_fmac_f16_e32 v62, 0xbaee, v64
	v_fmac_f16_e32 v61, 0x3aee, v38
	v_pack_b32_f16 v35, v35, v41
	v_pack_b32_f16 v38, v40, v60
	ds_write_b32 v50, v52
	ds_write_b32 v50, v59 offset:5400
	v_pack_b32_f16 v40, v62, v61
	ds_write_b32 v50, v10 offset:10800
	ds_write_b32 v51, v35
	ds_write_b32 v51, v38 offset:5400
	v_add_f16_e32 v10, v45, v67
	v_lshrrev_b32_e32 v35, 16, v71
	v_add_f16_e32 v38, v66, v46
	ds_write_b32 v51, v40 offset:10800
	v_add_f16_e32 v40, v71, v45
	v_fmac_f16_e32 v71, -0.5, v10
	v_sub_f16_e32 v10, v66, v46
	v_add_f16_e32 v41, v35, v66
	v_fmac_f16_e32 v35, -0.5, v38
	v_sub_f16_e32 v38, v45, v67
	v_add_f16_e32 v50, v75, v74
	v_fmamk_f16 v45, v10, 0x3aee, v71
	v_fmac_f16_e32 v71, 0xbaee, v10
	v_add_f16_e32 v10, v41, v46
	v_fmamk_f16 v41, v38, 0xbaee, v35
	v_add_f16_e32 v46, v26, v27
	v_fmac_f16_e32 v35, 0x3aee, v38
	v_lshrrev_b32_e32 v38, 16, v31
	v_add_f16_e32 v51, v31, v26
	v_sub_f16_e32 v26, v26, v27
	v_fmac_f16_e32 v31, -0.5, v46
	v_sub_f16_e32 v46, v75, v74
	v_add_f16_e32 v52, v38, v75
	v_fmac_f16_e32 v38, -0.5, v50
	v_add_f16_e32 v27, v51, v27
	v_add_f16_e32 v59, v37, v78
	v_fmamk_f16 v50, v46, 0x3aee, v31
	v_fmac_f16_e32 v31, 0xbaee, v46
	v_add_f16_e32 v46, v52, v74
	v_fmamk_f16 v51, v26, 0xbaee, v38
	v_add_f16_e32 v52, v42, v77
	v_fmac_f16_e32 v38, 0x3aee, v26
	v_lshrrev_b32_e32 v26, 16, v30
	v_add_f16_e32 v60, v30, v42
	v_sub_f16_e32 v42, v42, v77
	v_fmac_f16_e32 v30, -0.5, v52
	v_sub_f16_e32 v52, v37, v78
	v_add_f16_e32 v37, v26, v37
	v_fmac_f16_e32 v26, -0.5, v59
	v_add_f16_e32 v59, v60, v77
	v_add_f16_e32 v61, v8, v6
	v_fmamk_f16 v60, v52, 0x3aee, v30
	v_fmac_f16_e32 v30, 0xbaee, v52
	v_fmamk_f16 v52, v42, 0xbaee, v26
	v_fmac_f16_e32 v26, 0x3aee, v42
	v_lshrrev_b32_e32 v42, 16, v29
	v_add_f16_e32 v62, v15, v36
	v_add_f16_e32 v63, v29, v8
	v_fmac_f16_e32 v29, -0.5, v61
	v_sub_f16_e32 v61, v15, v36
	v_add_f16_e32 v15, v42, v15
	v_fmac_f16_e32 v42, -0.5, v62
	v_sub_f16_e32 v8, v8, v6
	v_add_f16_e32 v6, v63, v6
	v_fmamk_f16 v62, v61, 0x3aee, v29
	v_fmac_f16_e32 v29, 0xbaee, v61
	v_add_f16_e32 v15, v15, v36
	v_fmamk_f16 v36, v8, 0xbaee, v42
	v_add_f16_e32 v61, v9, v7
	v_fmac_f16_e32 v42, 0x3aee, v8
	v_lshrrev_b32_e32 v8, 16, v28
	v_add_f16_e32 v63, v56, v11
	v_add_f16_e32 v64, v28, v9
	v_fmac_f16_e32 v28, -0.5, v61
	v_sub_f16_e32 v61, v56, v11
	v_add_f16_e32 v56, v8, v56
	v_fmac_f16_e32 v8, -0.5, v63
	v_sub_f16_e32 v9, v9, v7
	v_add_f16_e32 v7, v64, v7
	v_fmamk_f16 v63, v61, 0x3aee, v28
	v_fmac_f16_e32 v28, 0xbaee, v61
	v_add_f16_e32 v11, v56, v11
	v_fmamk_f16 v56, v9, 0xbaee, v8
	v_add_f16_e32 v61, v2, v4
	;; [unrolled: 15-line block ×3, first 2 shown]
	v_lshrrev_b32_e32 v65, 16, v68
	v_fmac_f16_e32 v9, 0x3aee, v2
	v_add_f16_e32 v2, v32, v33
	v_add_f16_e32 v40, v40, v67
	;; [unrolled: 1-line block ×3, first 2 shown]
	v_fmac_f16_e32 v68, -0.5, v61
	v_add_f16_e32 v61, v65, v32
	v_sub_f16_e32 v32, v32, v33
	v_fmac_f16_e32 v65, -0.5, v2
	v_sub_f16_e32 v3, v3, v5
	v_add_f16_e32 v2, v66, v5
	v_pack_b32_f16 v5, v40, v10
	v_add_f16_e32 v37, v37, v78
	v_fmamk_f16 v10, v32, 0x3aee, v68
	v_fmac_f16_e32 v68, 0xbaee, v32
	v_add_f16_e32 v32, v61, v33
	v_fmamk_f16 v33, v3, 0xbaee, v65
	v_fmac_f16_e32 v65, 0x3aee, v3
	v_pack_b32_f16 v3, v45, v41
	ds_write_b32 v49, v5
	v_pack_b32_f16 v5, v71, v35
	v_pack_b32_f16 v27, v27, v46
	;; [unrolled: 1-line block ×4, first 2 shown]
	ds_write_b32 v49, v3 offset:5400
	ds_write_b32 v49, v5 offset:10800
	ds_write_b32 v48, v27
	ds_write_b32 v48, v35 offset:5400
	ds_write_b32 v48, v31 offset:10800
	v_pack_b32_f16 v3, v59, v37
	v_pack_b32_f16 v5, v60, v52
	;; [unrolled: 1-line block ×5, first 2 shown]
	ds_write_b32 v47, v3
	ds_write_b32 v47, v5 offset:5400
	ds_write_b32 v47, v26 offset:10800
	ds_write_b32 v44, v6
	ds_write_b32 v44, v15 offset:5400
	v_pack_b32_f16 v3, v29, v42
	v_pack_b32_f16 v5, v7, v11
	v_pack_b32_f16 v6, v63, v56
	v_pack_b32_f16 v7, v28, v8
	v_pack_b32_f16 v4, v4, v57
	ds_write_b32 v44, v3 offset:10800
	ds_write_b32 v55, v5
	ds_write_b32 v55, v6 offset:5400
	ds_write_b32 v55, v7 offset:10800
	ds_write_b32 v54, v4
	v_pack_b32_f16 v3, v64, v58
	v_pack_b32_f16 v0, v0, v9
	;; [unrolled: 1-line block ×5, first 2 shown]
	ds_write_b32 v54, v3 offset:5400
	ds_write_b32 v54, v0 offset:10800
	ds_write_b32 v53, v2
	ds_write_b32 v53, v4 offset:5400
	ds_write_b32 v53, v5 offset:10800
	s_waitcnt lgkmcnt(0)
	s_barrier
	buffer_gl0_inv
	ds_read_b32 v6, v34
	v_sub_nc_u32_e32 v0, 0, v13
                                        ; implicit-def: $vgpr4
                                        ; implicit-def: $vgpr3
                                        ; implicit-def: $vgpr2
	v_cmpx_ne_u32_e32 0, v12
	s_xor_b32 s5, exec_lo, s5
	s_cbranch_execz .LBB0_15
; %bb.14:
	v_mov_b32_e32 v13, v1
	v_lshlrev_b64 v[1:2], 2, v[12:13]
	v_add_co_u32 v1, s0, s1, v1
	v_add_co_ci_u32_e64 v2, s0, s4, v2, s0
	global_load_dword v1, v[1:2], off
	ds_read_b32 v2, v0 offset:16200
	s_waitcnt lgkmcnt(0)
	v_sub_f16_e32 v3, v6, v2
	v_add_f16_sdwa v4, v2, v6 dst_sel:DWORD dst_unused:UNUSED_PAD src0_sel:WORD_1 src1_sel:WORD_1
	v_sub_f16_sdwa v5, v6, v2 dst_sel:DWORD dst_unused:UNUSED_PAD src0_sel:WORD_1 src1_sel:WORD_1
	v_add_f16_e32 v2, v2, v6
	v_mul_f16_e32 v7, 0.5, v3
	v_mul_f16_e32 v4, 0.5, v4
	;; [unrolled: 1-line block ×3, first 2 shown]
	s_waitcnt vmcnt(0)
	v_lshrrev_b32_e32 v3, 16, v1
	v_mul_f16_e32 v6, v3, v7
	v_fma_f16 v8, v4, v3, v5
	v_fma_f16 v5, v4, v3, -v5
	v_fma_f16 v9, 0.5, v2, v6
	v_fma_f16 v6, v2, 0.5, -v6
	v_fma_f16 v2, -v1, v7, v8
	v_fmac_f16_e32 v9, v1, v4
	v_fma_f16 v3, -v1, v4, v6
	v_fma_f16 v4, -v1, v7, v5
                                        ; implicit-def: $vgpr6
	ds_write_b16 v34, v9
.LBB0_15:
	s_or_saveexec_b32 s0, s5
	v_mul_i32_i24_e32 v5, 0xffffffdc, v14
	v_mul_i32_i24_e32 v1, 0xffffffdc, v25
	s_xor_b32 exec_lo, exec_lo, s0
	s_cbranch_execz .LBB0_17
; %bb.16:
	v_mov_b32_e32 v2, 0
	s_waitcnt lgkmcnt(0)
	v_add_f16_sdwa v7, v6, v6 dst_sel:DWORD dst_unused:UNUSED_PAD src0_sel:WORD_1 src1_sel:DWORD
	v_sub_f16_sdwa v3, v6, v6 dst_sel:DWORD dst_unused:UNUSED_PAD src0_sel:DWORD src1_sel:WORD_1
	ds_read_u16 v4, v2 offset:8102
	s_waitcnt lgkmcnt(0)
	v_xor_b32_e32 v6, 0x8000, v4
	v_mov_b32_e32 v4, 0
	ds_write_b16 v34, v7
	ds_write_b16 v2, v6 offset:8102
.LBB0_17:
	s_or_b32 exec_lo, exec_lo, s0
	v_mov_b32_e32 v15, 0
	v_add_nc_u32_e32 v5, v39, v5
	ds_write_b16 v34, v2 offset:2
	ds_read_b32 v13, v0 offset:15660
	s_waitcnt lgkmcnt(2)
	v_lshlrev_b64 v[6:7], 2, v[14:15]
	v_mov_b32_e32 v26, v15
	v_add_nc_u32_e32 v14, 0x546, v12
	v_add_co_u32 v6, s0, s1, v6
	v_add_co_ci_u32_e64 v7, s0, s4, v7, s0
	global_load_dword v8, v[6:7], off
	v_lshlrev_b64 v[6:7], 2, v[25:26]
	v_mov_b32_e32 v25, v15
	v_add_co_u32 v6, s0, s1, v6
	v_add_co_ci_u32_e64 v7, s0, s4, v7, s0
	global_load_dword v9, v[6:7], off
	v_lshlrev_b64 v[6:7], 2, v[24:25]
	v_mov_b32_e32 v24, v15
	;; [unrolled: 5-line block ×4, first 2 shown]
	v_add_co_u32 v6, s0, s1, v6
	v_add_co_ci_u32_e64 v7, s0, s4, v7, s0
	global_load_dword v6, v[6:7], off
	v_perm_b32 v7, v4, v3, 0x5040100
	v_lshlrev_b64 v[3:4], 2, v[21:22]
	v_mov_b32_e32 v21, v15
	ds_write_b32 v0, v7 offset:16200
	ds_read_b32 v7, v5
	v_add_co_u32 v2, s0, s1, v3
	v_add_co_ci_u32_e64 v3, s0, s4, v4, s0
	global_load_dword v22, v[2:3], off
	s_waitcnt lgkmcnt(0)
	v_pk_add_f16 v2, v7, v13 neg_lo:[0,1] neg_hi:[0,1]
	v_pk_add_f16 v3, v7, v13
	v_bfi_b32 v4, 0xffff, v2, v3
	v_bfi_b32 v2, 0xffff, v3, v2
	v_pk_mul_f16 v3, v4, 0.5 op_sel_hi:[1,0]
	v_pk_mul_f16 v2, v2, 0.5 op_sel_hi:[1,0]
	s_waitcnt vmcnt(5)
	v_pk_fma_f16 v4, v8, v3, v2 op_sel:[1,0,0]
	v_pk_mul_f16 v7, v8, v3 op_sel_hi:[0,1]
	v_pk_fma_f16 v13, v8, v3, v2 op_sel:[1,0,0] neg_lo:[1,0,0] neg_hi:[1,0,0]
	v_pk_fma_f16 v2, v8, v3, v2 op_sel:[1,0,0] neg_lo:[0,0,1] neg_hi:[0,0,1]
	v_pk_add_f16 v3, v4, v7 op_sel:[0,1] op_sel_hi:[1,0]
	v_pk_add_f16 v4, v4, v7 op_sel:[0,1] op_sel_hi:[1,0] neg_lo:[0,1] neg_hi:[0,1]
	v_pk_add_f16 v8, v13, v7 op_sel:[0,1] op_sel_hi:[1,0] neg_lo:[0,1] neg_hi:[0,1]
	;; [unrolled: 1-line block ×3, first 2 shown]
	v_add_nc_u32_e32 v7, v43, v1
	v_bfi_b32 v3, 0xffff, v3, v4
	v_bfi_b32 v4, 0xffff, v8, v2
	v_lshlrev_b64 v[1:2], 2, v[20:21]
	ds_write_b32 v5, v3
	ds_write_b32 v0, v4 offset:15660
	ds_read_b32 v3, v7
	ds_read_b32 v4, v0 offset:15120
	v_mov_b32_e32 v20, v15
	v_add_co_u32 v1, s0, s1, v1
	v_add_co_ci_u32_e64 v2, s0, s4, v2, s0
	global_load_dword v5, v[1:2], off
	s_waitcnt lgkmcnt(0)
	v_pk_add_f16 v1, v3, v4 neg_lo:[0,1] neg_hi:[0,1]
	v_pk_add_f16 v2, v3, v4
	v_bfi_b32 v3, 0xffff, v1, v2
	v_bfi_b32 v1, 0xffff, v2, v1
	v_pk_mul_f16 v2, v3, 0.5 op_sel_hi:[1,0]
	v_pk_mul_f16 v1, v1, 0.5 op_sel_hi:[1,0]
	s_waitcnt vmcnt(5)
	v_pk_mul_f16 v4, v9, v2 op_sel_hi:[0,1]
	v_pk_fma_f16 v3, v9, v2, v1 op_sel:[1,0,0]
	v_pk_fma_f16 v8, v9, v2, v1 op_sel:[1,0,0] neg_lo:[1,0,0] neg_hi:[1,0,0]
	v_pk_fma_f16 v1, v9, v2, v1 op_sel:[1,0,0] neg_lo:[0,0,1] neg_hi:[0,0,1]
	v_pk_add_f16 v2, v3, v4 op_sel:[0,1] op_sel_hi:[1,0]
	v_pk_add_f16 v3, v3, v4 op_sel:[0,1] op_sel_hi:[1,0] neg_lo:[0,1] neg_hi:[0,1]
	v_pk_add_f16 v8, v8, v4 op_sel:[0,1] op_sel_hi:[1,0] neg_lo:[0,1] neg_hi:[0,1]
	;; [unrolled: 1-line block ×3, first 2 shown]
	v_bfi_b32 v3, 0xffff, v2, v3
	v_bfi_b32 v4, 0xffff, v8, v1
	v_lshlrev_b64 v[1:2], 2, v[19:20]
	ds_write_b32 v7, v3
	ds_write_b32 v0, v4 offset:15120
	ds_read_b32 v7, v49
	ds_read_b32 v8, v0 offset:14580
	v_mov_b32_e32 v19, v15
	v_add_co_u32 v1, s0, s1, v1
	v_add_co_ci_u32_e64 v2, s0, s4, v2, s0
	v_lshlrev_b64 v[3:4], 2, v[14:15]
	v_add_nc_u32_e32 v14, 0x5cd, v12
	global_load_dword v9, v[1:2], off
	v_lshlrev_b64 v[1:2], 2, v[18:19]
	v_add_co_u32 v1, s0, s1, v1
	v_add_co_ci_u32_e64 v2, s0, s4, v2, s0
	s_waitcnt lgkmcnt(0)
	v_pk_add_f16 v13, v7, v8 neg_lo:[0,1] neg_hi:[0,1]
	v_pk_add_f16 v7, v7, v8
	v_add_co_u32 v3, s0, s1, v3
	v_add_co_ci_u32_e64 v4, s0, s4, v4, s0
	v_bfi_b32 v8, 0xffff, v13, v7
	v_bfi_b32 v7, 0xffff, v7, v13
	s_clause 0x1
	global_load_dword v13, v[1:2], off
	global_load_dword v3, v[3:4], off
	v_pk_mul_f16 v8, v8, 0.5 op_sel_hi:[1,0]
	v_pk_mul_f16 v7, v7, 0.5 op_sel_hi:[1,0]
	s_waitcnt vmcnt(7)
	v_pk_mul_f16 v2, v10, v8 op_sel_hi:[0,1]
	v_pk_fma_f16 v1, v10, v8, v7 op_sel:[1,0,0]
	v_pk_fma_f16 v4, v10, v8, v7 op_sel:[1,0,0] neg_lo:[1,0,0] neg_hi:[1,0,0]
	v_pk_fma_f16 v7, v10, v8, v7 op_sel:[1,0,0] neg_lo:[0,0,1] neg_hi:[0,0,1]
	v_pk_add_f16 v8, v1, v2 op_sel:[0,1] op_sel_hi:[1,0]
	v_pk_add_f16 v1, v1, v2 op_sel:[0,1] op_sel_hi:[1,0] neg_lo:[0,1] neg_hi:[0,1]
	v_pk_add_f16 v4, v4, v2 op_sel:[0,1] op_sel_hi:[1,0] neg_lo:[0,1] neg_hi:[0,1]
	;; [unrolled: 1-line block ×3, first 2 shown]
	v_bfi_b32 v1, 0xffff, v8, v1
	v_bfi_b32 v2, 0xffff, v4, v2
	ds_write_b32 v49, v1
	ds_write_b32 v0, v2 offset:14580
	ds_read_b32 v1, v48
	ds_read_b32 v2, v0 offset:14040
	s_waitcnt lgkmcnt(0)
	v_pk_add_f16 v4, v1, v2 neg_lo:[0,1] neg_hi:[0,1]
	v_pk_add_f16 v1, v1, v2
	v_bfi_b32 v2, 0xffff, v4, v1
	v_bfi_b32 v1, 0xffff, v1, v4
	v_pk_mul_f16 v2, v2, 0.5 op_sel_hi:[1,0]
	v_pk_mul_f16 v1, v1, 0.5 op_sel_hi:[1,0]
	s_waitcnt vmcnt(6)
	v_pk_mul_f16 v7, v11, v2 op_sel_hi:[0,1]
	v_pk_fma_f16 v4, v11, v2, v1 op_sel:[1,0,0]
	v_pk_fma_f16 v8, v11, v2, v1 op_sel:[1,0,0] neg_lo:[1,0,0] neg_hi:[1,0,0]
	v_pk_fma_f16 v1, v11, v2, v1 op_sel:[1,0,0] neg_lo:[0,0,1] neg_hi:[0,0,1]
	v_pk_add_f16 v2, v4, v7 op_sel:[0,1] op_sel_hi:[1,0]
	v_pk_add_f16 v4, v4, v7 op_sel:[0,1] op_sel_hi:[1,0] neg_lo:[0,1] neg_hi:[0,1]
	v_pk_add_f16 v8, v8, v7 op_sel:[0,1] op_sel_hi:[1,0] neg_lo:[0,1] neg_hi:[0,1]
	;; [unrolled: 1-line block ×3, first 2 shown]
	v_bfi_b32 v2, 0xffff, v2, v4
	v_bfi_b32 v1, 0xffff, v8, v1
	ds_write_b32 v48, v2
	ds_write_b32 v0, v1 offset:14040
	ds_read_b32 v1, v47
	ds_read_b32 v2, v0 offset:13500
	s_waitcnt lgkmcnt(0)
	v_pk_add_f16 v4, v1, v2 neg_lo:[0,1] neg_hi:[0,1]
	v_pk_add_f16 v1, v1, v2
	v_bfi_b32 v2, 0xffff, v4, v1
	v_bfi_b32 v1, 0xffff, v1, v4
	v_pk_mul_f16 v2, v2, 0.5 op_sel_hi:[1,0]
	v_pk_mul_f16 v1, v1, 0.5 op_sel_hi:[1,0]
	s_waitcnt vmcnt(5)
	v_pk_mul_f16 v7, v6, v2 op_sel_hi:[0,1]
	v_pk_fma_f16 v4, v6, v2, v1 op_sel:[1,0,0]
	v_pk_fma_f16 v8, v6, v2, v1 op_sel:[1,0,0] neg_lo:[1,0,0] neg_hi:[1,0,0]
	v_pk_fma_f16 v1, v6, v2, v1 op_sel:[1,0,0] neg_lo:[0,0,1] neg_hi:[0,0,1]
	v_pk_add_f16 v2, v4, v7 op_sel:[0,1] op_sel_hi:[1,0]
	v_pk_add_f16 v4, v4, v7 op_sel:[0,1] op_sel_hi:[1,0] neg_lo:[0,1] neg_hi:[0,1]
	v_pk_add_f16 v6, v8, v7 op_sel:[0,1] op_sel_hi:[1,0] neg_lo:[0,1] neg_hi:[0,1]
	;; [unrolled: 1-line block ×3, first 2 shown]
	v_bfi_b32 v4, 0xffff, v2, v4
	v_bfi_b32 v6, 0xffff, v6, v1
	v_lshlrev_b64 v[1:2], 2, v[14:15]
	ds_write_b32 v47, v4
	ds_write_b32 v0, v6 offset:13500
	ds_read_b32 v4, v44
	ds_read_b32 v6, v0 offset:12960
	v_add_nc_u32_e32 v14, 0x654, v12
	v_add_co_u32 v1, s0, s1, v1
	v_add_co_ci_u32_e64 v2, s0, s4, v2, s0
	global_load_dword v7, v[1:2], off
	s_waitcnt lgkmcnt(0)
	v_pk_add_f16 v1, v4, v6 neg_lo:[0,1] neg_hi:[0,1]
	v_pk_add_f16 v2, v4, v6
	v_bfi_b32 v4, 0xffff, v1, v2
	v_bfi_b32 v1, 0xffff, v2, v1
	v_pk_mul_f16 v2, v4, 0.5 op_sel_hi:[1,0]
	v_pk_mul_f16 v1, v1, 0.5 op_sel_hi:[1,0]
	s_waitcnt vmcnt(5)
	v_pk_mul_f16 v6, v22, v2 op_sel_hi:[0,1]
	v_pk_fma_f16 v4, v22, v2, v1 op_sel:[1,0,0]
	v_pk_fma_f16 v8, v22, v2, v1 op_sel:[1,0,0] neg_lo:[1,0,0] neg_hi:[1,0,0]
	v_pk_fma_f16 v1, v22, v2, v1 op_sel:[1,0,0] neg_lo:[0,0,1] neg_hi:[0,0,1]
	v_pk_add_f16 v2, v4, v6 op_sel:[0,1] op_sel_hi:[1,0]
	v_pk_add_f16 v4, v4, v6 op_sel:[0,1] op_sel_hi:[1,0] neg_lo:[0,1] neg_hi:[0,1]
	v_pk_add_f16 v8, v8, v6 op_sel:[0,1] op_sel_hi:[1,0] neg_lo:[0,1] neg_hi:[0,1]
	;; [unrolled: 1-line block ×3, first 2 shown]
	v_bfi_b32 v4, 0xffff, v2, v4
	v_bfi_b32 v6, 0xffff, v8, v1
	v_lshlrev_b64 v[1:2], 2, v[14:15]
	ds_write_b32 v44, v4
	ds_write_b32 v0, v6 offset:12960
	ds_read_b32 v4, v55
	ds_read_b32 v6, v0 offset:12420
	v_add_nc_u32_e32 v14, 0x6db, v12
	v_add_co_u32 v1, s0, s1, v1
	v_add_co_ci_u32_e64 v2, s0, s4, v2, s0
	global_load_dword v8, v[1:2], off
	s_waitcnt lgkmcnt(0)
	v_pk_add_f16 v1, v4, v6 neg_lo:[0,1] neg_hi:[0,1]
	v_pk_add_f16 v2, v4, v6
	v_bfi_b32 v4, 0xffff, v1, v2
	v_bfi_b32 v1, 0xffff, v2, v1
	v_pk_mul_f16 v2, v4, 0.5 op_sel_hi:[1,0]
	v_pk_mul_f16 v1, v1, 0.5 op_sel_hi:[1,0]
	s_waitcnt vmcnt(5)
	v_pk_fma_f16 v4, v5, v2, v1 op_sel:[1,0,0]
	v_pk_mul_f16 v6, v5, v2 op_sel_hi:[0,1]
	v_pk_fma_f16 v10, v5, v2, v1 op_sel:[1,0,0] neg_lo:[1,0,0] neg_hi:[1,0,0]
	v_pk_fma_f16 v1, v5, v2, v1 op_sel:[1,0,0] neg_lo:[0,0,1] neg_hi:[0,0,1]
	v_pk_add_f16 v2, v4, v6 op_sel:[0,1] op_sel_hi:[1,0]
	v_pk_add_f16 v4, v4, v6 op_sel:[0,1] op_sel_hi:[1,0] neg_lo:[0,1] neg_hi:[0,1]
	v_pk_add_f16 v5, v10, v6 op_sel:[0,1] op_sel_hi:[1,0] neg_lo:[0,1] neg_hi:[0,1]
	;; [unrolled: 1-line block ×3, first 2 shown]
	v_bfi_b32 v4, 0xffff, v2, v4
	v_bfi_b32 v5, 0xffff, v5, v1
	v_lshlrev_b64 v[1:2], 2, v[14:15]
	ds_write_b32 v55, v4
	ds_write_b32 v0, v5 offset:12420
	ds_read_b32 v4, v54
	ds_read_b32 v5, v0 offset:11880
	v_add_nc_u32_e32 v14, 0x762, v12
	v_add_co_u32 v1, s0, s1, v1
	v_add_co_ci_u32_e64 v2, s0, s4, v2, s0
	global_load_dword v6, v[1:2], off
	s_waitcnt lgkmcnt(0)
	v_pk_add_f16 v1, v4, v5 neg_lo:[0,1] neg_hi:[0,1]
	v_pk_add_f16 v2, v4, v5
	v_bfi_b32 v4, 0xffff, v1, v2
	v_bfi_b32 v1, 0xffff, v2, v1
	v_pk_mul_f16 v2, v4, 0.5 op_sel_hi:[1,0]
	v_pk_mul_f16 v1, v1, 0.5 op_sel_hi:[1,0]
	s_waitcnt vmcnt(5)
	v_pk_mul_f16 v5, v9, v2 op_sel_hi:[0,1]
	v_pk_fma_f16 v4, v9, v2, v1 op_sel:[1,0,0]
	v_pk_fma_f16 v10, v9, v2, v1 op_sel:[1,0,0] neg_lo:[1,0,0] neg_hi:[1,0,0]
	v_pk_fma_f16 v1, v9, v2, v1 op_sel:[1,0,0] neg_lo:[0,0,1] neg_hi:[0,0,1]
	v_pk_add_f16 v2, v4, v5 op_sel:[0,1] op_sel_hi:[1,0]
	v_pk_add_f16 v4, v4, v5 op_sel:[0,1] op_sel_hi:[1,0] neg_lo:[0,1] neg_hi:[0,1]
	v_pk_add_f16 v9, v10, v5 op_sel:[0,1] op_sel_hi:[1,0] neg_lo:[0,1] neg_hi:[0,1]
	;; [unrolled: 1-line block ×3, first 2 shown]
	v_bfi_b32 v4, 0xffff, v2, v4
	v_bfi_b32 v5, 0xffff, v9, v1
	v_lshlrev_b64 v[1:2], 2, v[14:15]
	ds_write_b32 v54, v4
	ds_write_b32 v0, v5 offset:11880
	ds_read_b32 v4, v53
	ds_read_b32 v5, v0 offset:11340
	v_add_co_u32 v1, s0, s1, v1
	v_add_co_ci_u32_e64 v2, s0, s4, v2, s0
	global_load_dword v1, v[1:2], off
	s_waitcnt lgkmcnt(0)
	v_pk_add_f16 v2, v4, v5 neg_lo:[0,1] neg_hi:[0,1]
	v_pk_add_f16 v4, v4, v5
	v_bfi_b32 v5, 0xffff, v2, v4
	v_bfi_b32 v2, 0xffff, v4, v2
	v_pk_mul_f16 v4, v5, 0.5 op_sel_hi:[1,0]
	v_pk_mul_f16 v2, v2, 0.5 op_sel_hi:[1,0]
	s_waitcnt vmcnt(5)
	v_pk_mul_f16 v9, v13, v4 op_sel_hi:[0,1]
	v_pk_fma_f16 v5, v13, v4, v2 op_sel:[1,0,0]
	v_pk_fma_f16 v10, v13, v4, v2 op_sel:[1,0,0] neg_lo:[1,0,0] neg_hi:[1,0,0]
	v_pk_fma_f16 v2, v13, v4, v2 op_sel:[1,0,0] neg_lo:[0,0,1] neg_hi:[0,0,1]
	v_pk_add_f16 v4, v5, v9 op_sel:[0,1] op_sel_hi:[1,0]
	v_pk_add_f16 v5, v5, v9 op_sel:[0,1] op_sel_hi:[1,0] neg_lo:[0,1] neg_hi:[0,1]
	v_pk_add_f16 v10, v10, v9 op_sel:[0,1] op_sel_hi:[1,0] neg_lo:[0,1] neg_hi:[0,1]
	;; [unrolled: 1-line block ×3, first 2 shown]
	v_bfi_b32 v4, 0xffff, v4, v5
	v_bfi_b32 v2, 0xffff, v10, v2
	ds_write_b32 v53, v4
	ds_write_b32 v0, v2 offset:11340
	ds_read_b32 v2, v34 offset:5400
	ds_read_b32 v4, v0 offset:10800
	s_waitcnt lgkmcnt(0)
	v_pk_add_f16 v5, v2, v4 neg_lo:[0,1] neg_hi:[0,1]
	v_pk_add_f16 v2, v2, v4
	v_bfi_b32 v4, 0xffff, v5, v2
	v_bfi_b32 v2, 0xffff, v2, v5
	v_pk_mul_f16 v4, v4, 0.5 op_sel_hi:[1,0]
	v_pk_mul_f16 v2, v2, 0.5 op_sel_hi:[1,0]
	s_waitcnt vmcnt(4)
	v_pk_mul_f16 v9, v3, v4 op_sel_hi:[0,1]
	v_pk_fma_f16 v5, v3, v4, v2 op_sel:[1,0,0]
	v_pk_fma_f16 v10, v3, v4, v2 op_sel:[1,0,0] neg_lo:[1,0,0] neg_hi:[1,0,0]
	v_pk_fma_f16 v2, v3, v4, v2 op_sel:[1,0,0] neg_lo:[0,0,1] neg_hi:[0,0,1]
	v_pk_add_f16 v3, v5, v9 op_sel:[0,1] op_sel_hi:[1,0]
	v_pk_add_f16 v4, v5, v9 op_sel:[0,1] op_sel_hi:[1,0] neg_lo:[0,1] neg_hi:[0,1]
	v_pk_add_f16 v5, v10, v9 op_sel:[0,1] op_sel_hi:[1,0] neg_lo:[0,1] neg_hi:[0,1]
	v_pk_add_f16 v2, v2, v9 op_sel:[0,1] op_sel_hi:[1,0] neg_lo:[0,1] neg_hi:[0,1]
	v_bfi_b32 v3, 0xffff, v3, v4
	v_bfi_b32 v2, 0xffff, v5, v2
	ds_write_b32 v34, v3 offset:5400
	ds_write_b32 v0, v2 offset:10800
	ds_read_b32 v2, v34 offset:5940
	ds_read_b32 v3, v0 offset:10260
	s_waitcnt lgkmcnt(0)
	v_pk_add_f16 v4, v2, v3 neg_lo:[0,1] neg_hi:[0,1]
	v_pk_add_f16 v2, v2, v3
	v_bfi_b32 v3, 0xffff, v4, v2
	v_bfi_b32 v2, 0xffff, v2, v4
	v_pk_mul_f16 v3, v3, 0.5 op_sel_hi:[1,0]
	v_pk_mul_f16 v2, v2, 0.5 op_sel_hi:[1,0]
	s_waitcnt vmcnt(3)
	v_pk_mul_f16 v5, v7, v3 op_sel_hi:[0,1]
	v_pk_fma_f16 v4, v7, v3, v2 op_sel:[1,0,0]
	v_pk_fma_f16 v9, v7, v3, v2 op_sel:[1,0,0] neg_lo:[1,0,0] neg_hi:[1,0,0]
	v_pk_fma_f16 v2, v7, v3, v2 op_sel:[1,0,0] neg_lo:[0,0,1] neg_hi:[0,0,1]
	v_pk_add_f16 v3, v4, v5 op_sel:[0,1] op_sel_hi:[1,0]
	v_pk_add_f16 v4, v4, v5 op_sel:[0,1] op_sel_hi:[1,0] neg_lo:[0,1] neg_hi:[0,1]
	v_pk_add_f16 v7, v9, v5 op_sel:[0,1] op_sel_hi:[1,0] neg_lo:[0,1] neg_hi:[0,1]
	v_pk_add_f16 v2, v2, v5 op_sel:[0,1] op_sel_hi:[1,0] neg_lo:[0,1] neg_hi:[0,1]
	v_bfi_b32 v3, 0xffff, v3, v4
	v_bfi_b32 v2, 0xffff, v7, v2
	ds_write_b32 v34, v3 offset:5940
	;; [unrolled: 22-line block ×3, first 2 shown]
	ds_write_b32 v0, v2 offset:9720
	ds_read_b32 v2, v34 offset:7020
	ds_read_b32 v3, v0 offset:9180
	s_waitcnt lgkmcnt(0)
	v_pk_add_f16 v4, v2, v3 neg_lo:[0,1] neg_hi:[0,1]
	v_pk_add_f16 v2, v2, v3
	v_bfi_b32 v3, 0xffff, v4, v2
	v_bfi_b32 v2, 0xffff, v2, v4
	v_pk_mul_f16 v3, v3, 0.5 op_sel_hi:[1,0]
	v_pk_mul_f16 v2, v2, 0.5 op_sel_hi:[1,0]
	s_waitcnt vmcnt(1)
	v_pk_fma_f16 v4, v6, v3, v2 op_sel:[1,0,0]
	v_pk_mul_f16 v5, v6, v3 op_sel_hi:[0,1]
	v_pk_fma_f16 v7, v6, v3, v2 op_sel:[1,0,0] neg_lo:[1,0,0] neg_hi:[1,0,0]
	v_pk_fma_f16 v2, v6, v3, v2 op_sel:[1,0,0] neg_lo:[0,0,1] neg_hi:[0,0,1]
	v_pk_add_f16 v3, v4, v5 op_sel:[0,1] op_sel_hi:[1,0]
	v_pk_add_f16 v4, v4, v5 op_sel:[0,1] op_sel_hi:[1,0] neg_lo:[0,1] neg_hi:[0,1]
	v_pk_add_f16 v6, v7, v5 op_sel:[0,1] op_sel_hi:[1,0] neg_lo:[0,1] neg_hi:[0,1]
	;; [unrolled: 1-line block ×3, first 2 shown]
	v_bfi_b32 v3, 0xffff, v3, v4
	v_bfi_b32 v2, 0xffff, v6, v2
	ds_write_b32 v34, v3 offset:7020
	ds_write_b32 v0, v2 offset:9180
	ds_read_b32 v2, v34 offset:7560
	ds_read_b32 v3, v0 offset:8640
	s_waitcnt lgkmcnt(0)
	v_pk_add_f16 v4, v2, v3 neg_lo:[0,1] neg_hi:[0,1]
	v_pk_add_f16 v2, v2, v3
	v_bfi_b32 v3, 0xffff, v4, v2
	v_bfi_b32 v2, 0xffff, v2, v4
	v_pk_mul_f16 v3, v3, 0.5 op_sel_hi:[1,0]
	v_pk_mul_f16 v2, v2, 0.5 op_sel_hi:[1,0]
	s_waitcnt vmcnt(0)
	v_pk_mul_f16 v5, v1, v3 op_sel_hi:[0,1]
	v_pk_fma_f16 v4, v1, v3, v2 op_sel:[1,0,0]
	v_pk_fma_f16 v6, v1, v3, v2 op_sel:[1,0,0] neg_lo:[1,0,0] neg_hi:[1,0,0]
	v_pk_fma_f16 v1, v1, v3, v2 op_sel:[1,0,0] neg_lo:[0,0,1] neg_hi:[0,0,1]
	v_pk_add_f16 v2, v4, v5 op_sel:[0,1] op_sel_hi:[1,0]
	v_pk_add_f16 v3, v4, v5 op_sel:[0,1] op_sel_hi:[1,0] neg_lo:[0,1] neg_hi:[0,1]
	v_pk_add_f16 v4, v6, v5 op_sel:[0,1] op_sel_hi:[1,0] neg_lo:[0,1] neg_hi:[0,1]
	;; [unrolled: 1-line block ×3, first 2 shown]
	v_bfi_b32 v2, 0xffff, v2, v3
	v_bfi_b32 v1, 0xffff, v4, v1
	ds_write_b32 v34, v2 offset:7560
	ds_write_b32 v0, v1 offset:8640
	s_waitcnt lgkmcnt(0)
	s_barrier
	buffer_gl0_inv
	s_and_saveexec_b32 s0, vcc_lo
	s_cbranch_execz .LBB0_20
; %bb.18:
	v_add_nc_u32_e32 v0, 0x400, v34
	v_add_nc_u32_e32 v1, 0x800, v34
	ds_read2_b32 v[2:3], v34 offset1:135
	v_mov_b32_e32 v13, v15
	v_add_nc_u32_e32 v10, 0xc00, v34
	ds_read2_b32 v[4:5], v0 offset0:14 offset1:149
	ds_read2_b32 v[8:9], v1 offset0:28 offset1:163
	v_add_co_u32 v0, vcc_lo, s2, v16
	v_lshlrev_b64 v[6:7], 2, v[12:13]
	v_add_nc_u32_e32 v13, 0x1000, v34
	ds_read2_b32 v[10:11], v10 offset0:42 offset1:177
	v_add_co_ci_u32_e32 v1, vcc_lo, s3, v17, vcc_lo
	v_add_nc_u32_e32 v17, 0x1c00, v34
	ds_read2_b32 v[13:14], v13 offset0:56 offset1:191
	v_add_co_u32 v6, vcc_lo, v0, v6
	v_add_co_ci_u32_e32 v7, vcc_lo, v1, v7, vcc_lo
	v_add_nc_u32_e32 v18, 0x2000, v34
	v_add_co_u32 v15, vcc_lo, 0x800, v6
	v_add_co_ci_u32_e32 v16, vcc_lo, 0, v7, vcc_lo
	s_waitcnt lgkmcnt(4)
	global_store_dword v[6:7], v2, off
	global_store_dword v[6:7], v3, off offset:540
	s_waitcnt lgkmcnt(3)
	global_store_dword v[6:7], v4, off offset:1080
	v_add_nc_u32_e32 v2, 0x1400, v34
	v_add_nc_u32_e32 v4, 0x1800, v34
	global_store_dword v[6:7], v5, off offset:1620
	s_waitcnt lgkmcnt(2)
	global_store_dword v[15:16], v8, off offset:112
	global_store_dword v[15:16], v9, off offset:652
	ds_read2_b32 v[2:3], v2 offset0:70 offset1:205
	ds_read2_b32 v[4:5], v4 offset0:84 offset1:219
	v_add_co_u32 v8, vcc_lo, 0x1000, v6
	v_add_co_ci_u32_e32 v9, vcc_lo, 0, v7, vcc_lo
	s_waitcnt lgkmcnt(3)
	global_store_dword v[15:16], v10, off offset:1192
	global_store_dword v[15:16], v11, off offset:1732
	ds_read2_b32 v[10:11], v17 offset0:98 offset1:233
	ds_read2_b32 v[15:16], v18 offset0:112 offset1:247
	s_waitcnt lgkmcnt(4)
	global_store_dword v[8:9], v13, off offset:224
	v_add_nc_u32_e32 v13, 0x2500, v34
	global_store_dword v[8:9], v14, off offset:764
	v_add_co_u32 v17, vcc_lo, 0x1800, v6
	v_add_co_ci_u32_e32 v18, vcc_lo, 0, v7, vcc_lo
	ds_read2_b32 v[13:14], v13 offset0:62 offset1:197
	s_waitcnt lgkmcnt(4)
	global_store_dword v[8:9], v2, off offset:1304
	global_store_dword v[8:9], v3, off offset:1844
	s_waitcnt lgkmcnt(3)
	global_store_dword v[17:18], v4, off offset:336
	global_store_dword v[17:18], v5, off offset:876
	v_add_nc_u32_e32 v4, 0x2a00, v34
	v_add_co_u32 v2, vcc_lo, 0x2000, v6
	v_add_nc_u32_e32 v8, 0x2e00, v34
	v_add_co_ci_u32_e32 v3, vcc_lo, 0, v7, vcc_lo
	s_waitcnt lgkmcnt(2)
	global_store_dword v[17:18], v10, off offset:1416
	global_store_dword v[17:18], v11, off offset:1956
	ds_read2_b32 v[4:5], v4 offset0:12 offset1:147
	ds_read2_b32 v[8:9], v8 offset0:26 offset1:161
	v_add_nc_u32_e32 v10, 0x3200, v34
	v_add_nc_u32_e32 v11, 0x3600, v34
	s_waitcnt lgkmcnt(3)
	global_store_dword v[2:3], v15, off offset:448
	v_add_nc_u32_e32 v15, 0x3a00, v34
	global_store_dword v[2:3], v16, off offset:988
	s_waitcnt lgkmcnt(2)
	global_store_dword v[2:3], v13, off offset:1528
	ds_read2_b32 v[2:3], v10 offset0:40 offset1:175
	ds_read2_b32 v[10:11], v11 offset0:54 offset1:189
	;; [unrolled: 1-line block ×3, first 2 shown]
	v_add_co_u32 v17, vcc_lo, 0x2800, v6
	v_add_co_ci_u32_e32 v18, vcc_lo, 0, v7, vcc_lo
	v_add_co_u32 v19, vcc_lo, 0x3000, v6
	v_add_co_ci_u32_e32 v20, vcc_lo, 0, v7, vcc_lo
	global_store_dword v[17:18], v14, off offset:20
	s_waitcnt lgkmcnt(4)
	global_store_dword v[17:18], v4, off offset:560
	global_store_dword v[17:18], v5, off offset:1100
	s_waitcnt lgkmcnt(3)
	global_store_dword v[17:18], v8, off offset:1640
	global_store_dword v[19:20], v9, off offset:132
	v_add_co_u32 v4, vcc_lo, 0x3800, v6
	v_add_co_ci_u32_e32 v5, vcc_lo, 0, v7, vcc_lo
	v_cmp_eq_u32_e32 vcc_lo, 0x86, v12
	s_waitcnt lgkmcnt(2)
	global_store_dword v[19:20], v2, off offset:672
	global_store_dword v[19:20], v3, off offset:1212
	s_waitcnt lgkmcnt(1)
	global_store_dword v[19:20], v10, off offset:1752
	global_store_dword v[4:5], v11, off offset:244
	;; [unrolled: 3-line block ×3, first 2 shown]
	s_and_b32 exec_lo, exec_lo, vcc_lo
	s_cbranch_execz .LBB0_20
; %bb.19:
	v_mov_b32_e32 v2, 0
	v_add_co_u32 v0, vcc_lo, 0x3800, v0
	v_add_co_ci_u32_e32 v1, vcc_lo, 0, v1, vcc_lo
	ds_read_b32 v2, v2 offset:16200
	s_waitcnt lgkmcnt(0)
	global_store_dword v[0:1], v2, off offset:1864
.LBB0_20:
	s_endpgm
	.section	.rodata,"a",@progbits
	.p2align	6, 0x0
	.amdhsa_kernel fft_rtc_fwd_len4050_factors_10_5_3_3_3_3_wgs_135_tpt_135_halfLds_half_ip_CI_unitstride_sbrr_R2C_dirReg
		.amdhsa_group_segment_fixed_size 0
		.amdhsa_private_segment_fixed_size 0
		.amdhsa_kernarg_size 88
		.amdhsa_user_sgpr_count 6
		.amdhsa_user_sgpr_private_segment_buffer 1
		.amdhsa_user_sgpr_dispatch_ptr 0
		.amdhsa_user_sgpr_queue_ptr 0
		.amdhsa_user_sgpr_kernarg_segment_ptr 1
		.amdhsa_user_sgpr_dispatch_id 0
		.amdhsa_user_sgpr_flat_scratch_init 0
		.amdhsa_user_sgpr_private_segment_size 0
		.amdhsa_wavefront_size32 1
		.amdhsa_uses_dynamic_stack 0
		.amdhsa_system_sgpr_private_segment_wavefront_offset 0
		.amdhsa_system_sgpr_workgroup_id_x 1
		.amdhsa_system_sgpr_workgroup_id_y 0
		.amdhsa_system_sgpr_workgroup_id_z 0
		.amdhsa_system_sgpr_workgroup_info 0
		.amdhsa_system_vgpr_workitem_id 0
		.amdhsa_next_free_vgpr 117
		.amdhsa_next_free_sgpr 21
		.amdhsa_reserve_vcc 1
		.amdhsa_reserve_flat_scratch 0
		.amdhsa_float_round_mode_32 0
		.amdhsa_float_round_mode_16_64 0
		.amdhsa_float_denorm_mode_32 3
		.amdhsa_float_denorm_mode_16_64 3
		.amdhsa_dx10_clamp 1
		.amdhsa_ieee_mode 1
		.amdhsa_fp16_overflow 0
		.amdhsa_workgroup_processor_mode 1
		.amdhsa_memory_ordered 1
		.amdhsa_forward_progress 0
		.amdhsa_shared_vgpr_count 0
		.amdhsa_exception_fp_ieee_invalid_op 0
		.amdhsa_exception_fp_denorm_src 0
		.amdhsa_exception_fp_ieee_div_zero 0
		.amdhsa_exception_fp_ieee_overflow 0
		.amdhsa_exception_fp_ieee_underflow 0
		.amdhsa_exception_fp_ieee_inexact 0
		.amdhsa_exception_int_div_zero 0
	.end_amdhsa_kernel
	.text
.Lfunc_end0:
	.size	fft_rtc_fwd_len4050_factors_10_5_3_3_3_3_wgs_135_tpt_135_halfLds_half_ip_CI_unitstride_sbrr_R2C_dirReg, .Lfunc_end0-fft_rtc_fwd_len4050_factors_10_5_3_3_3_3_wgs_135_tpt_135_halfLds_half_ip_CI_unitstride_sbrr_R2C_dirReg
                                        ; -- End function
	.section	.AMDGPU.csdata,"",@progbits
; Kernel info:
; codeLenInByte = 24764
; NumSgprs: 23
; NumVgprs: 117
; ScratchSize: 0
; MemoryBound: 0
; FloatMode: 240
; IeeeMode: 1
; LDSByteSize: 0 bytes/workgroup (compile time only)
; SGPRBlocks: 2
; VGPRBlocks: 14
; NumSGPRsForWavesPerEU: 23
; NumVGPRsForWavesPerEU: 117
; Occupancy: 8
; WaveLimiterHint : 1
; COMPUTE_PGM_RSRC2:SCRATCH_EN: 0
; COMPUTE_PGM_RSRC2:USER_SGPR: 6
; COMPUTE_PGM_RSRC2:TRAP_HANDLER: 0
; COMPUTE_PGM_RSRC2:TGID_X_EN: 1
; COMPUTE_PGM_RSRC2:TGID_Y_EN: 0
; COMPUTE_PGM_RSRC2:TGID_Z_EN: 0
; COMPUTE_PGM_RSRC2:TIDIG_COMP_CNT: 0
	.text
	.p2alignl 6, 3214868480
	.fill 48, 4, 3214868480
	.type	__hip_cuid_c0c4145027f10f12,@object ; @__hip_cuid_c0c4145027f10f12
	.section	.bss,"aw",@nobits
	.globl	__hip_cuid_c0c4145027f10f12
__hip_cuid_c0c4145027f10f12:
	.byte	0                               ; 0x0
	.size	__hip_cuid_c0c4145027f10f12, 1

	.ident	"AMD clang version 19.0.0git (https://github.com/RadeonOpenCompute/llvm-project roc-6.4.0 25133 c7fe45cf4b819c5991fe208aaa96edf142730f1d)"
	.section	".note.GNU-stack","",@progbits
	.addrsig
	.addrsig_sym __hip_cuid_c0c4145027f10f12
	.amdgpu_metadata
---
amdhsa.kernels:
  - .args:
      - .actual_access:  read_only
        .address_space:  global
        .offset:         0
        .size:           8
        .value_kind:     global_buffer
      - .offset:         8
        .size:           8
        .value_kind:     by_value
      - .actual_access:  read_only
        .address_space:  global
        .offset:         16
        .size:           8
        .value_kind:     global_buffer
      - .actual_access:  read_only
        .address_space:  global
        .offset:         24
        .size:           8
        .value_kind:     global_buffer
      - .offset:         32
        .size:           8
        .value_kind:     by_value
      - .actual_access:  read_only
        .address_space:  global
        .offset:         40
        .size:           8
        .value_kind:     global_buffer
      - .actual_access:  read_only
        .address_space:  global
        .offset:         48
        .size:           8
        .value_kind:     global_buffer
      - .offset:         56
        .size:           4
        .value_kind:     by_value
      - .actual_access:  read_only
        .address_space:  global
        .offset:         64
        .size:           8
        .value_kind:     global_buffer
      - .actual_access:  read_only
        .address_space:  global
        .offset:         72
        .size:           8
        .value_kind:     global_buffer
      - .address_space:  global
        .offset:         80
        .size:           8
        .value_kind:     global_buffer
    .group_segment_fixed_size: 0
    .kernarg_segment_align: 8
    .kernarg_segment_size: 88
    .language:       OpenCL C
    .language_version:
      - 2
      - 0
    .max_flat_workgroup_size: 135
    .name:           fft_rtc_fwd_len4050_factors_10_5_3_3_3_3_wgs_135_tpt_135_halfLds_half_ip_CI_unitstride_sbrr_R2C_dirReg
    .private_segment_fixed_size: 0
    .sgpr_count:     23
    .sgpr_spill_count: 0
    .symbol:         fft_rtc_fwd_len4050_factors_10_5_3_3_3_3_wgs_135_tpt_135_halfLds_half_ip_CI_unitstride_sbrr_R2C_dirReg.kd
    .uniform_work_group_size: 1
    .uses_dynamic_stack: false
    .vgpr_count:     117
    .vgpr_spill_count: 0
    .wavefront_size: 32
    .workgroup_processor_mode: 1
amdhsa.target:   amdgcn-amd-amdhsa--gfx1030
amdhsa.version:
  - 1
  - 2
...

	.end_amdgpu_metadata
